;; amdgpu-corpus repo=ROCm/rocFFT kind=compiled arch=gfx906 opt=O3
	.text
	.amdgcn_target "amdgcn-amd-amdhsa--gfx906"
	.amdhsa_code_object_version 6
	.protected	bluestein_single_back_len1690_dim1_sp_op_CI_CI ; -- Begin function bluestein_single_back_len1690_dim1_sp_op_CI_CI
	.globl	bluestein_single_back_len1690_dim1_sp_op_CI_CI
	.p2align	8
	.type	bluestein_single_back_len1690_dim1_sp_op_CI_CI,@function
bluestein_single_back_len1690_dim1_sp_op_CI_CI: ; @bluestein_single_back_len1690_dim1_sp_op_CI_CI
; %bb.0:
	s_load_dwordx4 s[0:3], s[4:5], 0x28
	v_mul_u32_u24_e32 v1, 0x184, v0
	v_add_u32_sdwa v68, s6, v1 dst_sel:DWORD dst_unused:UNUSED_PAD src0_sel:DWORD src1_sel:WORD_1
	v_mov_b32_e32 v69, 0
	s_waitcnt lgkmcnt(0)
	v_cmp_gt_u64_e32 vcc, s[0:1], v[68:69]
	s_and_saveexec_b64 s[0:1], vcc
	s_cbranch_execz .LBB0_23
; %bb.1:
	s_load_dwordx2 s[10:11], s[4:5], 0x0
	s_load_dwordx2 s[8:9], s[4:5], 0x38
	s_movk_i32 s0, 0xa9
	v_mul_lo_u16_sdwa v1, v1, s0 dst_sel:DWORD dst_unused:UNUSED_PAD src0_sel:WORD_1 src1_sel:DWORD
	v_sub_u16_e32 v76, v0, v1
	s_movk_i32 s0, 0x82
	v_cmp_gt_u16_e64 s[0:1], s0, v76
	v_lshlrev_b32_e32 v75, 3, v76
	s_and_saveexec_b64 s[6:7], s[0:1]
	s_cbranch_execz .LBB0_3
; %bb.2:
	s_load_dwordx2 s[12:13], s[4:5], 0x18
	s_waitcnt lgkmcnt(0)
	s_load_dwordx4 s[12:15], s[12:13], 0x0
	s_waitcnt lgkmcnt(0)
	v_mad_u64_u32 v[0:1], s[16:17], s14, v68, 0
	v_mad_u64_u32 v[2:3], s[16:17], s12, v76, 0
	;; [unrolled: 1-line block ×4, first 2 shown]
	v_mov_b32_e32 v1, v4
	v_lshlrev_b64 v[0:1], 3, v[0:1]
	v_mov_b32_e32 v3, v5
	v_mov_b32_e32 v6, s3
	v_lshlrev_b64 v[2:3], 3, v[2:3]
	v_add_co_u32_e32 v0, vcc, s2, v0
	v_addc_co_u32_e32 v1, vcc, v6, v1, vcc
	v_add_co_u32_e32 v0, vcc, v0, v2
	v_addc_co_u32_e32 v1, vcc, v1, v3, vcc
	v_mov_b32_e32 v2, s11
	v_add_co_u32_e32 v52, vcc, s10, v75
	s_mul_i32 s2, s13, 0x410
	s_mul_hi_u32 s3, s12, 0x410
	v_addc_co_u32_e32 v53, vcc, 0, v2, vcc
	s_add_i32 s2, s3, s2
	s_mul_i32 s3, s12, 0x410
	v_mov_b32_e32 v3, s2
	v_add_co_u32_e32 v2, vcc, s3, v0
	v_addc_co_u32_e32 v3, vcc, v1, v3, vcc
	v_mov_b32_e32 v5, s2
	v_add_co_u32_e32 v4, vcc, s3, v2
	v_addc_co_u32_e32 v5, vcc, v3, v5, vcc
	v_mov_b32_e32 v13, s2
	v_add_co_u32_e32 v12, vcc, s3, v4
	v_addc_co_u32_e32 v13, vcc, v5, v13, vcc
	global_load_dwordx2 v[6:7], v75, s[10:11]
	global_load_dwordx2 v[8:9], v75, s[10:11] offset:1040
	global_load_dwordx2 v[10:11], v75, s[10:11] offset:2080
	global_load_dwordx2 v[14:15], v[0:1], off
	global_load_dwordx2 v[16:17], v[2:3], off
	;; [unrolled: 1-line block ×4, first 2 shown]
	global_load_dwordx2 v[22:23], v75, s[10:11] offset:3120
	v_mov_b32_e32 v1, s2
	v_add_co_u32_e32 v0, vcc, s3, v12
	v_addc_co_u32_e32 v1, vcc, v13, v1, vcc
	s_movk_i32 s12, 0x1000
	v_add_co_u32_e32 v4, vcc, s12, v52
	v_addc_co_u32_e32 v5, vcc, 0, v53, vcc
	global_load_dwordx2 v[2:3], v[0:1], off
	v_mov_b32_e32 v12, s2
	v_add_co_u32_e32 v0, vcc, s3, v0
	v_addc_co_u32_e32 v1, vcc, v1, v12, vcc
	global_load_dwordx2 v[12:13], v[0:1], off
	v_mov_b32_e32 v24, s2
	;; [unrolled: 4-line block ×3, first 2 shown]
	v_add_co_u32_e32 v0, vcc, s3, v0
	v_addc_co_u32_e32 v1, vcc, v1, v26, vcc
	global_load_dwordx2 v[26:27], v[0:1], off
	global_load_dwordx2 v[28:29], v[4:5], off offset:64
	global_load_dwordx2 v[30:31], v[4:5], off offset:1104
	;; [unrolled: 1-line block ×4, first 2 shown]
	v_mov_b32_e32 v4, s2
	v_add_co_u32_e32 v0, vcc, s3, v0
	v_addc_co_u32_e32 v1, vcc, v1, v4, vcc
	s_movk_i32 s12, 0x2000
	v_add_co_u32_e32 v36, vcc, s12, v52
	v_addc_co_u32_e32 v37, vcc, 0, v53, vcc
	global_load_dwordx2 v[4:5], v[0:1], off
	v_mov_b32_e32 v38, s2
	v_add_co_u32_e32 v0, vcc, s3, v0
	v_addc_co_u32_e32 v1, vcc, v1, v38, vcc
	global_load_dwordx2 v[38:39], v[0:1], off
	global_load_dwordx2 v[40:41], v[36:37], off offset:128
	global_load_dwordx2 v[42:43], v[36:37], off offset:1168
	v_mov_b32_e32 v44, s2
	v_add_co_u32_e32 v0, vcc, s3, v0
	v_addc_co_u32_e32 v1, vcc, v1, v44, vcc
	global_load_dwordx2 v[44:45], v[0:1], off
	v_mov_b32_e32 v46, s2
	v_add_co_u32_e32 v0, vcc, s3, v0
	v_addc_co_u32_e32 v1, vcc, v1, v46, vcc
	global_load_dwordx2 v[46:47], v[0:1], off
	global_load_dwordx2 v[48:49], v[36:37], off offset:2208
	global_load_dwordx2 v[50:51], v[36:37], off offset:3248
	v_mov_b32_e32 v36, s2
	v_add_co_u32_e32 v0, vcc, s3, v0
	v_addc_co_u32_e32 v1, vcc, v1, v36, vcc
	v_add_co_u32_e32 v36, vcc, 0x3000, v52
	v_addc_co_u32_e32 v37, vcc, 0, v53, vcc
	global_load_dwordx2 v[0:1], v[0:1], off
	s_waitcnt vmcnt(21)
	v_mul_f32_e32 v52, v15, v7
	global_load_dwordx2 v[36:37], v[36:37], off offset:192
	v_mul_f32_e32 v7, v14, v7
	v_fmac_f32_e32 v52, v14, v6
	v_fma_f32 v53, v15, v6, -v7
	s_waitcnt vmcnt(21)
	v_mul_f32_e32 v6, v17, v9
	v_mul_f32_e32 v7, v16, v9
	v_fmac_f32_e32 v6, v16, v8
	v_fma_f32 v7, v17, v8, -v7
	ds_write2_b64 v75, v[52:53], v[6:7] offset1:130
	s_waitcnt vmcnt(20)
	v_mul_f32_e32 v6, v19, v11
	v_mul_f32_e32 v7, v18, v11
	s_waitcnt vmcnt(18)
	v_mul_f32_e32 v8, v21, v23
	v_mul_f32_e32 v9, v20, v23
	v_fmac_f32_e32 v6, v18, v10
	v_fma_f32 v7, v19, v10, -v7
	v_fmac_f32_e32 v8, v20, v22
	v_fma_f32 v9, v21, v22, -v9
	v_add_u32_e32 v10, 0x800, v75
	ds_write2_b64 v10, v[6:7], v[8:9] offset0:4 offset1:134
	v_add_u32_e32 v8, 0x1000, v75
	s_waitcnt vmcnt(13)
	v_mul_f32_e32 v6, v3, v29
	v_fmac_f32_e32 v6, v2, v28
	v_mul_f32_e32 v2, v2, v29
	v_fma_f32 v7, v3, v28, -v2
	s_waitcnt vmcnt(12)
	v_mul_f32_e32 v2, v13, v31
	v_mul_f32_e32 v3, v12, v31
	v_fmac_f32_e32 v2, v12, v30
	v_fma_f32 v3, v13, v30, -v3
	ds_write2_b64 v8, v[6:7], v[2:3] offset0:8 offset1:138
	s_waitcnt vmcnt(11)
	v_mul_f32_e32 v2, v25, v33
	v_mul_f32_e32 v3, v24, v33
	s_waitcnt vmcnt(10)
	v_mul_f32_e32 v6, v27, v35
	v_mul_f32_e32 v7, v26, v35
	v_fmac_f32_e32 v2, v24, v32
	v_fma_f32 v3, v25, v32, -v3
	v_fmac_f32_e32 v6, v26, v34
	v_fma_f32 v7, v27, v34, -v7
	v_add_u32_e32 v8, 0x1800, v75
	ds_write2_b64 v8, v[2:3], v[6:7] offset0:12 offset1:142
	s_waitcnt vmcnt(7)
	v_mul_f32_e32 v2, v5, v41
	v_mul_f32_e32 v3, v4, v41
	v_fmac_f32_e32 v2, v4, v40
	v_fma_f32 v3, v5, v40, -v3
	s_waitcnt vmcnt(6)
	v_mul_f32_e32 v4, v39, v43
	v_mul_f32_e32 v5, v38, v43
	v_fmac_f32_e32 v4, v38, v42
	v_fma_f32 v5, v39, v42, -v5
	v_add_u32_e32 v6, 0x2000, v75
	ds_write2_b64 v6, v[2:3], v[4:5] offset0:16 offset1:146
	v_add_u32_e32 v6, 0x2800, v75
	s_waitcnt vmcnt(3)
	v_mul_f32_e32 v2, v45, v49
	v_mul_f32_e32 v3, v44, v49
	s_waitcnt vmcnt(2)
	v_mul_f32_e32 v4, v47, v51
	v_mul_f32_e32 v5, v46, v51
	v_fmac_f32_e32 v2, v44, v48
	v_fma_f32 v3, v45, v48, -v3
	v_fmac_f32_e32 v4, v46, v50
	v_fma_f32 v5, v47, v50, -v5
	ds_write2_b64 v6, v[2:3], v[4:5] offset0:20 offset1:150
	s_waitcnt vmcnt(0)
	v_mul_f32_e32 v2, v1, v37
	v_fmac_f32_e32 v2, v0, v36
	v_mul_f32_e32 v0, v0, v37
	v_fma_f32 v3, v1, v36, -v0
	ds_write_b64 v75, v[2:3] offset:12480
.LBB0_3:
	s_or_b64 exec, exec, s[6:7]
	s_load_dwordx2 s[6:7], s[4:5], 0x20
	s_load_dwordx2 s[2:3], s[4:5], 0x8
	v_mov_b32_e32 v0, 0
	v_mov_b32_e32 v1, 0
	s_waitcnt lgkmcnt(0)
	s_barrier
	s_waitcnt lgkmcnt(0)
                                        ; implicit-def: $vgpr6
                                        ; implicit-def: $vgpr16
                                        ; implicit-def: $vgpr20
                                        ; implicit-def: $vgpr24
                                        ; implicit-def: $vgpr14
                                        ; implicit-def: $vgpr10
	s_and_saveexec_b64 s[4:5], s[0:1]
	s_cbranch_execz .LBB0_5
; %bb.4:
	v_add_u32_e32 v4, 0x800, v75
	ds_read2_b64 v[8:11], v4 offset0:4 offset1:134
	v_add_u32_e32 v4, 0x1000, v75
	ds_read2_b64 v[12:15], v4 offset0:8 offset1:138
	v_add_u32_e32 v4, 0x1800, v75
	v_add_u32_e32 v16, 0x2000, v75
	;; [unrolled: 1-line block ×3, first 2 shown]
	ds_read2_b64 v[0:3], v75 offset1:130
	ds_read2_b64 v[4:7], v4 offset0:12 offset1:142
	ds_read2_b64 v[16:19], v16 offset0:16 offset1:146
	;; [unrolled: 1-line block ×3, first 2 shown]
	ds_read_b64 v[24:25], v75 offset:12480
.LBB0_5:
	s_or_b64 exec, exec, s[4:5]
	s_waitcnt lgkmcnt(0)
	v_sub_f32_e32 v60, v3, v25
	v_mul_f32_e32 v36, 0xbeedf032, v60
	v_add_f32_e32 v26, v24, v2
	v_sub_f32_e32 v66, v2, v24
	v_mov_b32_e32 v28, v36
	v_add_f32_e32 v27, v25, v3
	s_mov_b32 s12, 0x3f62ad3f
	v_mul_f32_e32 v38, 0xbeedf032, v66
	v_fmac_f32_e32 v28, 0x3f62ad3f, v26
	v_add_f32_e32 v30, v28, v0
	v_fma_f32 v28, v27, s12, -v38
	v_mul_f32_e32 v45, 0xbf52af12, v60
	v_add_f32_e32 v31, v28, v1
	v_mov_b32_e32 v28, v45
	s_mov_b32 s13, 0x3f116cb1
	v_mul_f32_e32 v48, 0xbf52af12, v66
	v_fmac_f32_e32 v28, 0x3f116cb1, v26
	v_sub_f32_e32 v67, v9, v23
	v_add_f32_e32 v32, v28, v0
	v_fma_f32 v28, v27, s13, -v48
	v_mul_f32_e32 v44, 0xbf52af12, v67
	v_add_f32_e32 v33, v28, v1
	v_add_f32_e32 v28, v22, v8
	v_sub_f32_e32 v71, v8, v22
	v_mov_b32_e32 v34, v44
	v_add_f32_e32 v29, v23, v9
	v_mul_f32_e32 v46, 0xbf52af12, v71
	v_fmac_f32_e32 v34, 0x3f116cb1, v28
	v_add_f32_e32 v34, v34, v30
	v_fma_f32 v30, v29, s13, -v46
	v_mul_f32_e32 v49, 0xbf6f5d39, v67
	v_add_f32_e32 v35, v30, v31
	v_mov_b32_e32 v30, v49
	s_mov_b32 s15, 0xbeb58ec6
	v_mul_f32_e32 v53, 0xbf6f5d39, v71
	v_fmac_f32_e32 v30, 0xbeb58ec6, v28
	v_sub_f32_e32 v72, v11, v21
	v_add_f32_e32 v32, v30, v32
	v_fma_f32 v30, v29, s15, -v53
	v_mul_f32_e32 v47, 0xbf7e222b, v72
	v_add_f32_e32 v33, v30, v33
	v_add_f32_e32 v30, v20, v10
	v_sub_f32_e32 v74, v10, v20
	v_mov_b32_e32 v37, v47
	s_mov_b32 s14, 0x3df6dbef
	v_add_f32_e32 v31, v21, v11
	v_mul_f32_e32 v50, 0xbf7e222b, v74
	v_fmac_f32_e32 v37, 0x3df6dbef, v30
	v_add_f32_e32 v34, v37, v34
	v_fma_f32 v37, v31, s14, -v50
	v_mul_f32_e32 v52, 0xbe750f2a, v72
	v_add_f32_e32 v35, v37, v35
	v_mov_b32_e32 v37, v52
	s_mov_b32 s16, 0xbf788fa5
	v_mul_f32_e32 v57, 0xbe750f2a, v74
	v_fmac_f32_e32 v37, 0xbf788fa5, v30
	v_sub_f32_e32 v78, v13, v19
	v_add_f32_e32 v37, v37, v32
	v_fma_f32 v32, v31, s16, -v57
	v_mul_f32_e32 v51, 0xbf6f5d39, v78
	v_add_f32_e32 v39, v32, v33
	v_add_f32_e32 v32, v18, v12
	v_sub_f32_e32 v79, v12, v18
	v_mov_b32_e32 v40, v51
	v_add_f32_e32 v33, v19, v13
	v_mul_f32_e32 v54, 0xbf6f5d39, v79
	v_fmac_f32_e32 v40, 0xbeb58ec6, v32
	v_add_f32_e32 v40, v40, v34
	v_fma_f32 v34, v33, s15, -v54
	v_mul_f32_e32 v56, 0x3f29c268, v78
	v_add_f32_e32 v41, v34, v35
	v_mov_b32_e32 v34, v56
	s_mov_b32 s17, 0xbf3f9e67
	v_mul_f32_e32 v61, 0x3f29c268, v79
	v_fmac_f32_e32 v34, 0xbf3f9e67, v32
	v_sub_f32_e32 v80, v15, v17
	v_add_f32_e32 v37, v34, v37
	v_fma_f32 v34, v33, s17, -v61
	v_mul_f32_e32 v55, 0xbf29c268, v80
	v_add_f32_e32 v39, v34, v39
	v_add_f32_e32 v34, v16, v14
	v_sub_f32_e32 v87, v14, v16
	v_mov_b32_e32 v42, v55
	v_add_f32_e32 v35, v17, v15
	v_mul_f32_e32 v58, 0xbf29c268, v87
	v_fmac_f32_e32 v42, 0xbf3f9e67, v34
	v_add_f32_e32 v40, v42, v40
	v_fma_f32 v42, v35, s17, -v58
	v_mul_f32_e32 v62, 0x3f7e222b, v80
	v_add_f32_e32 v41, v42, v41
	v_mov_b32_e32 v42, v62
	v_mul_f32_e32 v69, 0x3f7e222b, v87
	v_fmac_f32_e32 v42, 0x3df6dbef, v34
	v_sub_f32_e32 v88, v5, v7
	v_add_f32_e32 v42, v42, v37
	v_fma_f32 v37, v35, s14, -v69
	v_mul_f32_e32 v59, 0xbe750f2a, v88
	v_add_f32_e32 v43, v37, v39
	v_add_f32_e32 v37, v6, v4
	v_sub_f32_e32 v89, v4, v6
	v_mov_b32_e32 v64, v59
	v_add_f32_e32 v39, v7, v5
	v_mul_f32_e32 v63, 0xbe750f2a, v89
	v_fmac_f32_e32 v64, 0xbf788fa5, v37
	v_add_f32_e32 v64, v64, v40
	v_fma_f32 v40, v39, s16, -v63
	v_mul_f32_e32 v70, 0x3eedf032, v88
	v_add_f32_e32 v65, v40, v41
	v_mov_b32_e32 v40, v70
	v_mul_f32_e32 v73, 0x3eedf032, v89
	v_fmac_f32_e32 v40, 0x3f62ad3f, v37
	v_mul_f32_e32 v81, 0xbf7e222b, v60
	v_fma_f32 v41, v39, s12, -v73
	v_add_f32_e32 v42, v40, v42
	v_mov_b32_e32 v40, v81
	v_mul_f32_e32 v86, 0xbe750f2a, v67
	v_add_f32_e32 v43, v41, v43
	v_fmac_f32_e32 v40, 0x3df6dbef, v26
	v_mov_b32_e32 v41, v86
	v_add_f32_e32 v40, v40, v0
	v_fmac_f32_e32 v41, 0xbf788fa5, v28
	v_mul_f32_e32 v82, 0x3f6f5d39, v72
	v_add_f32_e32 v40, v41, v40
	v_mov_b32_e32 v41, v82
	v_fmac_f32_e32 v41, 0xbeb58ec6, v30
	v_mul_f32_e32 v83, 0x3eedf032, v78
	v_add_f32_e32 v40, v41, v40
	v_mov_b32_e32 v41, v83
	;; [unrolled: 4-line block ×4, first 2 shown]
	v_fmac_f32_e32 v41, 0xbf3f9e67, v37
	v_mul_f32_e32 v94, 0xbf7e222b, v66
	v_add_f32_e32 v40, v41, v40
	v_fma_f32 v41, v27, s14, -v94
	v_mul_f32_e32 v95, 0xbe750f2a, v71
	v_add_f32_e32 v41, v41, v1
	v_fma_f32 v77, v29, s16, -v95
	;; [unrolled: 3-line block ×6, first 2 shown]
	v_add_f32_e32 v41, v77, v41
	v_mul_lo_u16_e32 v77, 13, v76
	s_barrier
	s_and_saveexec_b64 s[4:5], s[0:1]
	s_cbranch_execz .LBB0_7
; %bb.6:
	v_mul_f32_e32 v100, 0xbe750f2a, v66
	v_mov_b32_e32 v96, v100
	v_mul_f32_e32 v101, 0x3eedf032, v71
	v_fmac_f32_e32 v96, 0xbf788fa5, v27
	v_mov_b32_e32 v97, v101
	v_add_f32_e32 v96, v96, v1
	v_fmac_f32_e32 v97, 0x3f62ad3f, v29
	v_mul_f32_e32 v102, 0xbf29c268, v74
	v_add_f32_e32 v96, v97, v96
	v_mov_b32_e32 v97, v102
	v_fmac_f32_e32 v97, 0xbf3f9e67, v31
	v_mul_f32_e32 v103, 0x3f52af12, v79
	v_add_f32_e32 v96, v97, v96
	v_mov_b32_e32 v97, v103
	;; [unrolled: 4-line block ×4, first 2 shown]
	v_fmac_f32_e32 v97, 0x3df6dbef, v39
	v_mul_f32_e32 v106, 0xbe750f2a, v60
	v_add_f32_e32 v97, v97, v96
	v_fma_f32 v96, v26, s16, -v106
	v_mul_f32_e32 v107, 0x3eedf032, v67
	v_add_f32_e32 v96, v96, v0
	v_fma_f32 v98, v28, s12, -v107
	v_mul_f32_e32 v108, 0xbf29c268, v72
	v_add_f32_e32 v96, v98, v96
	v_fma_f32 v98, v30, s17, -v108
	v_mul_f32_e32 v109, 0x3f52af12, v78
	v_add_f32_e32 v96, v98, v96
	v_fma_f32 v98, v32, s13, -v109
	v_mul_f32_e32 v110, 0xbf6f5d39, v80
	v_add_f32_e32 v96, v98, v96
	v_fma_f32 v98, v34, s15, -v110
	v_mul_f32_e32 v111, 0x3f7e222b, v88
	v_add_f32_e32 v96, v98, v96
	v_fma_f32 v98, v37, s14, -v111
	v_mul_f32_e32 v112, 0xbf29c268, v66
	v_add_f32_e32 v96, v98, v96
	v_mov_b32_e32 v98, v112
	v_mul_f32_e32 v113, 0x3f7e222b, v71
	v_fmac_f32_e32 v98, 0xbf3f9e67, v27
	v_mov_b32_e32 v99, v113
	v_add_f32_e32 v98, v98, v1
	v_fmac_f32_e32 v99, 0x3df6dbef, v29
	v_mul_f32_e32 v114, 0xbf52af12, v74
	v_add_f32_e32 v98, v99, v98
	v_mov_b32_e32 v99, v114
	v_fmac_f32_e32 v99, 0x3f116cb1, v31
	v_mul_f32_e32 v115, 0x3e750f2a, v79
	v_add_f32_e32 v98, v99, v98
	v_mov_b32_e32 v99, v115
	;; [unrolled: 4-line block ×4, first 2 shown]
	v_fmac_f32_e32 v99, 0xbeb58ec6, v39
	v_mul_f32_e32 v118, 0xbf29c268, v60
	v_add_f32_e32 v99, v99, v98
	v_fma_f32 v98, v26, s17, -v118
	v_mul_f32_e32 v119, 0x3f7e222b, v67
	v_add_f32_e32 v98, v98, v0
	v_fma_f32 v120, v28, s14, -v119
	v_add_f32_e32 v98, v120, v98
	v_mul_f32_e32 v120, 0xbf52af12, v72
	v_fma_f32 v121, v30, s13, -v120
	v_add_f32_e32 v98, v121, v98
	v_mul_f32_e32 v121, 0x3e750f2a, v78
	;; [unrolled: 3-line block ×5, first 2 shown]
	v_mov_b32_e32 v66, v124
	v_mul_f32_e32 v125, 0x3f29c268, v71
	v_fmac_f32_e32 v66, 0xbeb58ec6, v27
	v_mov_b32_e32 v71, v125
	v_add_f32_e32 v66, v66, v1
	v_fmac_f32_e32 v71, 0xbf3f9e67, v29
	v_mul_f32_e32 v74, 0x3eedf032, v74
	v_add_f32_e32 v66, v71, v66
	v_mov_b32_e32 v71, v74
	v_fmac_f32_e32 v71, 0x3f62ad3f, v31
	v_mul_f32_e32 v79, 0xbf7e222b, v79
	v_add_f32_e32 v66, v71, v66
	v_mov_b32_e32 v71, v79
	;; [unrolled: 4-line block ×3, first 2 shown]
	v_fmac_f32_e32 v71, 0xbf788fa5, v35
	v_mul_f32_e32 v60, 0xbf6f5d39, v60
	v_add_f32_e32 v66, v71, v66
	v_fma_f32 v71, v26, s15, -v60
	v_mul_f32_e32 v126, 0x3f29c268, v67
	v_add_f32_e32 v71, v71, v0
	v_fma_f32 v67, v28, s17, -v126
	;; [unrolled: 3-line block ×4, first 2 shown]
	v_mul_f32_e32 v80, 0x3e750f2a, v80
	v_mul_f32_e32 v89, 0x3f52af12, v89
	v_add_f32_e32 v67, v71, v67
	v_fma_f32 v71, v34, s16, -v80
	v_add_f32_e32 v71, v71, v67
	v_mov_b32_e32 v67, v89
	v_fmac_f32_e32 v67, 0x3f116cb1, v39
	v_mul_f32_e32 v88, 0x3f52af12, v88
	v_add_f32_e32 v67, v67, v66
	v_fma_f32 v66, v37, s13, -v88
	v_add_f32_e32 v66, v66, v71
	v_mul_f32_e32 v71, 0x3df6dbef, v27
	v_add_f32_e32 v71, v94, v71
	v_mul_f32_e32 v72, 0xbf788fa5, v29
	v_add_f32_e32 v72, v95, v72
	v_add_f32_e32 v71, v71, v1
	v_add_f32_e32 v71, v72, v71
	v_mul_f32_e32 v72, 0xbeb58ec6, v31
	v_add_f32_e32 v72, v93, v72
	v_add_f32_e32 v71, v72, v71
	v_mul_f32_e32 v72, 0x3f62ad3f, v33
	v_add_f32_e32 v72, v92, v72
	v_add_f32_e32 v71, v72, v71
	;; [unrolled: 3-line block ×3, first 2 shown]
	v_mul_f32_e32 v72, 0xbf3f9e67, v39
	v_add_f32_e32 v72, v90, v72
	v_mul_f32_e32 v90, 0x3df6dbef, v26
	v_sub_f32_e32 v81, v90, v81
	v_mul_f32_e32 v90, 0xbf788fa5, v28
	v_sub_f32_e32 v86, v90, v86
	v_add_f32_e32 v81, v81, v0
	v_add_f32_e32 v81, v86, v81
	v_mul_f32_e32 v86, 0xbeb58ec6, v30
	v_sub_f32_e32 v82, v86, v82
	v_add_f32_e32 v81, v82, v81
	v_mul_f32_e32 v82, 0x3f62ad3f, v32
	v_sub_f32_e32 v82, v82, v83
	v_mul_f32_e32 v91, 0x3f116cb1, v27
	v_add_f32_e32 v81, v82, v81
	v_mul_f32_e32 v82, 0x3f116cb1, v34
	v_sub_f32_e32 v82, v82, v84
	v_mul_f32_e32 v84, 0xbeb58ec6, v29
	v_add_f32_e32 v48, v48, v91
	v_mul_f32_e32 v91, 0xbf788fa5, v31
	v_add_f32_e32 v53, v53, v84
	v_add_f32_e32 v48, v48, v1
	;; [unrolled: 1-line block ×5, first 2 shown]
	v_mul_f32_e32 v57, 0xbf3f9e67, v33
	v_add_f32_e32 v57, v61, v57
	v_add_f32_e32 v48, v57, v48
	v_mul_f32_e32 v57, 0x3df6dbef, v35
	v_mul_f32_e32 v92, 0x3f116cb1, v26
	v_add_f32_e32 v81, v82, v81
	v_mul_f32_e32 v82, 0xbf3f9e67, v37
	v_add_f32_e32 v57, v69, v57
	v_mul_f32_e32 v83, 0xbeb58ec6, v28
	v_sub_f32_e32 v82, v82, v85
	v_add_f32_e32 v48, v57, v48
	v_mul_f32_e32 v57, 0x3f62ad3f, v39
	v_sub_f32_e32 v45, v92, v45
	v_add_f32_e32 v2, v2, v0
	v_add_f32_e32 v72, v72, v71
	;; [unrolled: 1-line block ×3, first 2 shown]
	v_mul_f32_e32 v82, 0xbf788fa5, v30
	v_add_f32_e32 v57, v73, v57
	v_sub_f32_e32 v49, v83, v49
	v_add_f32_e32 v45, v45, v0
	v_add_f32_e32 v3, v3, v1
	;; [unrolled: 1-line block ×3, first 2 shown]
	v_mul_f32_e32 v91, 0xbf3f9e67, v32
	v_add_f32_e32 v45, v49, v45
	v_add_f32_e32 v49, v57, v48
	v_sub_f32_e32 v48, v82, v52
	v_add_f32_e32 v3, v9, v3
	v_add_f32_e32 v2, v10, v2
	v_mul_f32_e32 v73, 0x3df6dbef, v34
	v_add_f32_e32 v45, v48, v45
	v_sub_f32_e32 v48, v91, v56
	v_add_f32_e32 v3, v11, v3
	v_add_f32_e32 v2, v12, v2
	v_mul_f32_e32 v93, 0x3f62ad3f, v27
	v_mul_f32_e32 v95, 0x3f62ad3f, v37
	v_add_f32_e32 v45, v48, v45
	v_sub_f32_e32 v48, v73, v62
	v_add_f32_e32 v3, v13, v3
	v_add_f32_e32 v2, v14, v2
	v_mul_f32_e32 v86, 0x3f116cb1, v29
	v_add_f32_e32 v45, v48, v45
	v_sub_f32_e32 v48, v95, v70
	v_add_f32_e32 v38, v38, v93
	v_add_f32_e32 v3, v15, v3
	;; [unrolled: 1-line block ×3, first 2 shown]
	v_mul_f32_e32 v81, 0x3df6dbef, v31
	v_add_f32_e32 v48, v48, v45
	v_add_f32_e32 v38, v38, v1
	;; [unrolled: 1-line block ×5, first 2 shown]
	v_fma_f32 v4, v27, s16, -v100
	v_fma_f32 v6, v27, s17, -v112
	v_mul_f32_e32 v53, 0xbeb58ec6, v33
	v_add_f32_e32 v38, v45, v38
	v_add_f32_e32 v45, v50, v81
	v_add_f32_e32 v3, v7, v3
	v_add_f32_e32 v4, v4, v1
	v_fma_f32 v5, v29, s12, -v101
	v_add_f32_e32 v6, v6, v1
	v_fma_f32 v7, v29, s14, -v113
	v_mul_f32_e32 v69, 0xbf3f9e67, v35
	v_add_f32_e32 v38, v45, v38
	v_add_f32_e32 v45, v54, v53
	;; [unrolled: 1-line block ×3, first 2 shown]
	v_fma_f32 v5, v31, s17, -v102
	v_add_f32_e32 v6, v7, v6
	v_fma_f32 v7, v31, s13, -v114
	v_mul_f32_e32 v94, 0x3f62ad3f, v26
	v_mul_f32_e32 v83, 0xbf788fa5, v39
	v_add_f32_e32 v38, v45, v38
	v_add_f32_e32 v45, v58, v69
	;; [unrolled: 1-line block ×3, first 2 shown]
	v_fma_f32 v5, v33, s13, -v103
	v_add_f32_e32 v6, v7, v6
	v_fma_f32 v7, v33, s16, -v115
	v_mul_f32_e32 v90, 0x3f116cb1, v28
	v_add_f32_e32 v38, v45, v38
	v_add_f32_e32 v45, v63, v83
	v_sub_f32_e32 v36, v94, v36
	v_add_f32_e32 v4, v5, v4
	v_fma_f32 v5, v35, s15, -v104
	v_add_f32_e32 v6, v7, v6
	v_fma_f32 v7, v35, s12, -v116
	v_fma_f32 v8, v27, s15, -v124
	v_mul_f32_e32 v85, 0x3df6dbef, v30
	v_add_f32_e32 v45, v45, v38
	v_add_f32_e32 v36, v36, v0
	v_sub_f32_e32 v38, v90, v44
	v_add_f32_e32 v4, v5, v4
	v_fma_f32 v5, v39, s14, -v105
	v_fmac_f32_e32 v106, 0xbf788fa5, v26
	v_add_f32_e32 v6, v7, v6
	v_fma_f32 v7, v39, s15, -v117
	v_fmac_f32_e32 v118, 0xbf3f9e67, v26
	;; [unrolled: 3-line block ×3, first 2 shown]
	v_mul_f32_e32 v84, 0xbeb58ec6, v32
	v_add_f32_e32 v36, v38, v36
	v_sub_f32_e32 v38, v85, v47
	v_add_f32_e32 v3, v17, v3
	v_add_f32_e32 v2, v16, v2
	;; [unrolled: 1-line block ×4, first 2 shown]
	v_fmac_f32_e32 v107, 0x3f62ad3f, v28
	v_add_f32_e32 v7, v7, v6
	v_add_f32_e32 v6, v118, v0
	v_fmac_f32_e32 v119, 0x3df6dbef, v28
	v_add_f32_e32 v1, v8, v1
	v_fma_f32 v8, v31, s12, -v74
	v_add_f32_e32 v0, v60, v0
	v_fmac_f32_e32 v126, 0xbf3f9e67, v28
	v_mul_f32_e32 v61, 0xbf3f9e67, v34
	v_add_f32_e32 v36, v38, v36
	v_sub_f32_e32 v38, v84, v51
	v_add_f32_e32 v3, v19, v3
	v_add_f32_e32 v2, v18, v2
	;; [unrolled: 1-line block ×3, first 2 shown]
	v_fmac_f32_e32 v108, 0xbf3f9e67, v30
	v_add_f32_e32 v6, v119, v6
	v_fmac_f32_e32 v120, 0x3f116cb1, v30
	v_add_f32_e32 v1, v8, v1
	v_fma_f32 v8, v33, s14, -v79
	v_add_f32_e32 v0, v126, v0
	v_fmac_f32_e32 v127, 0x3f62ad3f, v30
	v_mul_f32_e32 v92, 0xbf788fa5, v37
	v_add_f32_e32 v36, v38, v36
	v_sub_f32_e32 v38, v61, v55
	v_add_f32_e32 v3, v21, v3
	v_add_f32_e32 v2, v20, v2
	;; [unrolled: 1-line block ×3, first 2 shown]
	v_fmac_f32_e32 v109, 0x3f116cb1, v32
	v_add_f32_e32 v6, v120, v6
	v_fmac_f32_e32 v121, 0xbf788fa5, v32
	v_add_f32_e32 v1, v8, v1
	v_fma_f32 v8, v35, s16, -v87
	v_add_f32_e32 v0, v127, v0
	v_fmac_f32_e32 v78, 0x3df6dbef, v32
	v_add_f32_e32 v36, v38, v36
	v_sub_f32_e32 v38, v92, v59
	v_add_f32_e32 v3, v23, v3
	v_add_f32_e32 v2, v22, v2
	;; [unrolled: 1-line block ×3, first 2 shown]
	v_fmac_f32_e32 v110, 0xbeb58ec6, v34
	v_add_f32_e32 v6, v121, v6
	v_fmac_f32_e32 v122, 0x3f62ad3f, v34
	v_add_f32_e32 v1, v8, v1
	v_fma_f32 v8, v39, s13, -v89
	v_add_f32_e32 v0, v78, v0
	v_fmac_f32_e32 v80, 0xbf788fa5, v34
	v_add_f32_e32 v44, v38, v36
	v_add_f32_e32 v3, v25, v3
	;; [unrolled: 1-line block ×4, first 2 shown]
	v_fmac_f32_e32 v111, 0x3df6dbef, v37
	v_add_f32_e32 v6, v122, v6
	v_fmac_f32_e32 v123, 0xbeb58ec6, v37
	v_add_f32_e32 v1, v8, v1
	v_add_f32_e32 v0, v80, v0
	v_fmac_f32_e32 v88, 0x3f116cb1, v37
	v_lshlrev_b32_e32 v8, 3, v77
	v_add_f32_e32 v4, v111, v4
	v_add_f32_e32 v6, v123, v6
	;; [unrolled: 1-line block ×3, first 2 shown]
	ds_write2_b64 v8, v[2:3], v[44:45] offset1:1
	ds_write2_b64 v8, v[48:49], v[71:72] offset0:2 offset1:3
	ds_write2_b64 v8, v[66:67], v[98:99] offset0:4 offset1:5
	;; [unrolled: 1-line block ×5, first 2 shown]
	ds_write_b64 v8, v[64:65] offset:96
.LBB0_7:
	s_or_b64 exec, exec, s[4:5]
	s_movk_i32 s12, 0x4f
	v_mul_lo_u16_sdwa v0, v76, s12 dst_sel:DWORD dst_unused:UNUSED_PAD src0_sel:BYTE_0 src1_sel:DWORD
	v_lshrrev_b16_e32 v14, 10, v0
	v_mul_lo_u16_e32 v0, 13, v14
	v_sub_u16_e32 v0, v76, v0
	v_and_b32_e32 v15, 0xff, v0
	v_mov_b32_e32 v0, s2
	s_movk_i32 s12, 0x48
	v_mov_b32_e32 v1, s3
	v_mad_u64_u32 v[12:13], s[12:13], v15, s12, v[0:1]
	s_load_dwordx4 s[4:7], s[6:7], 0x0
	s_waitcnt lgkmcnt(0)
	s_barrier
	global_load_dwordx4 v[16:19], v[12:13], off
	global_load_dwordx4 v[8:11], v[12:13], off offset:16
	global_load_dwordx4 v[4:7], v[12:13], off offset:32
	;; [unrolled: 1-line block ×3, first 2 shown]
	global_load_dwordx2 v[69:70], v[12:13], off offset:64
	v_add_u32_e32 v13, 0x800, v75
	v_add_u32_e32 v28, 0x1400, v75
	;; [unrolled: 1-line block ×3, first 2 shown]
	ds_read2_b64 v[20:23], v75 offset1:169
	v_add_u32_e32 v12, 0x2800, v75
	ds_read2_b64 v[24:27], v13 offset0:82 offset1:251
	ds_read2_b64 v[28:31], v28 offset0:36 offset1:205
	ds_read2_b64 v[32:35], v32 offset0:54 offset1:223
	ds_read2_b64 v[36:39], v12 offset0:72 offset1:241
	s_mov_b32 s14, 0x3f737871
	s_mov_b32 s12, 0xbf737871
	;; [unrolled: 1-line block ×4, first 2 shown]
	v_mul_u32_u24_e32 v14, 0x82, v14
	v_add_lshl_u32 v78, v14, v15, 3
	s_waitcnt vmcnt(0) lgkmcnt(0)
	s_barrier
	v_mul_f32_e32 v46, v24, v19
	v_mul_f32_e32 v48, v26, v9
	;; [unrolled: 1-line block ×9, first 2 shown]
	v_fmac_f32_e32 v46, v25, v18
	v_fmac_f32_e32 v48, v27, v8
	v_fma_f32 v25, v28, v10, -v49
	v_fma_f32 v27, v32, v6, -v54
	v_mul_f32_e32 v44, v23, v17
	v_mul_f32_e32 v55, v32, v7
	;; [unrolled: 1-line block ×3, first 2 shown]
	v_fmac_f32_e32 v51, v23, v16
	v_fma_f32 v23, v24, v18, -v45
	v_fmac_f32_e32 v50, v29, v10
	v_fma_f32 v29, v36, v2, -v58
	v_add_f32_e32 v32, v25, v27
	v_mul_f32_e32 v52, v31, v5
	v_mul_f32_e32 v53, v30, v5
	;; [unrolled: 1-line block ×5, first 2 shown]
	v_fmac_f32_e32 v59, v37, v2
	v_add_f32_e32 v37, v23, v29
	v_fma_f32 v32, -0.5, v32, v20
	v_mul_f32_e32 v56, v35, v1
	v_fma_f32 v24, v26, v8, -v47
	v_fma_f32 v26, v30, v4, -v52
	v_fmac_f32_e32 v53, v31, v4
	v_fmac_f32_e32 v55, v33, v6
	;; [unrolled: 1-line block ×3, first 2 shown]
	v_fma_f32 v30, v38, v69, -v60
	v_fmac_f32_e32 v61, v39, v69
	v_add_f32_e32 v31, v20, v23
	v_sub_f32_e32 v33, v46, v59
	v_sub_f32_e32 v35, v23, v25
	;; [unrolled: 1-line block ×5, first 2 shown]
	v_fma_f32 v20, -0.5, v37, v20
	v_mov_b32_e32 v37, v32
	v_fma_f32 v28, v34, v0, -v56
	v_sub_f32_e32 v34, v50, v55
	v_add_f32_e32 v35, v35, v36
	v_add_f32_e32 v36, v38, v39
	v_fmac_f32_e32 v32, 0xbf737871, v33
	v_mov_b32_e32 v38, v20
	v_fmac_f32_e32 v37, 0x3f737871, v33
	v_add_f32_e32 v31, v31, v25
	v_fmac_f32_e32 v20, 0x3f737871, v34
	v_fmac_f32_e32 v32, 0xbf167918, v34
	;; [unrolled: 1-line block ×4, first 2 shown]
	v_add_f32_e32 v34, v50, v55
	v_add_f32_e32 v31, v31, v27
	v_fma_f32 v34, -0.5, v34, v21
	v_add_f32_e32 v31, v31, v29
	v_sub_f32_e32 v23, v23, v29
	v_mov_b32_e32 v29, v34
	v_fmac_f32_e32 v32, 0x3e9e377a, v35
	v_fmac_f32_e32 v37, 0x3e9e377a, v35
	;; [unrolled: 1-line block ×3, first 2 shown]
	v_sub_f32_e32 v25, v25, v27
	v_sub_f32_e32 v27, v46, v50
	;; [unrolled: 1-line block ×3, first 2 shown]
	v_fmac_f32_e32 v34, 0x3f737871, v23
	v_fmac_f32_e32 v29, 0xbf167918, v25
	v_add_f32_e32 v27, v27, v35
	v_fmac_f32_e32 v34, 0x3f167918, v25
	v_fmac_f32_e32 v29, 0x3e9e377a, v27
	;; [unrolled: 1-line block ×3, first 2 shown]
	v_add_f32_e32 v27, v46, v59
	v_fmac_f32_e32 v20, 0xbf167918, v33
	v_fmac_f32_e32 v38, 0x3f167918, v33
	v_add_f32_e32 v33, v21, v46
	v_fma_f32 v21, -0.5, v27, v21
	v_mov_b32_e32 v27, v21
	v_fma_f32 v22, v22, v16, -v44
	v_fmac_f32_e32 v20, 0x3e9e377a, v36
	v_fmac_f32_e32 v38, 0x3e9e377a, v36
	;; [unrolled: 1-line block ×3, first 2 shown]
	v_sub_f32_e32 v35, v50, v46
	v_sub_f32_e32 v36, v55, v59
	v_fmac_f32_e32 v21, 0xbf737871, v25
	v_add_f32_e32 v25, v26, v28
	v_fmac_f32_e32 v27, 0xbf167918, v23
	v_add_f32_e32 v35, v35, v36
	v_fmac_f32_e32 v21, 0x3f167918, v23
	v_fma_f32 v25, -0.5, v25, v22
	v_fmac_f32_e32 v27, 0x3e9e377a, v35
	v_fmac_f32_e32 v21, 0x3e9e377a, v35
	v_sub_f32_e32 v35, v48, v61
	v_mov_b32_e32 v36, v25
	v_fmac_f32_e32 v36, 0x3f737871, v35
	v_sub_f32_e32 v39, v53, v57
	v_sub_f32_e32 v44, v24, v26
	;; [unrolled: 1-line block ×3, first 2 shown]
	v_fmac_f32_e32 v25, 0xbf737871, v35
	v_fmac_f32_e32 v36, 0x3f167918, v39
	v_add_f32_e32 v44, v44, v45
	v_fmac_f32_e32 v25, 0xbf167918, v39
	v_fmac_f32_e32 v36, 0x3e9e377a, v44
	v_fmac_f32_e32 v25, 0x3e9e377a, v44
	v_add_f32_e32 v44, v24, v30
	v_add_f32_e32 v23, v22, v24
	v_fmac_f32_e32 v22, -0.5, v44
	v_mov_b32_e32 v49, v22
	v_add_f32_e32 v23, v23, v26
	v_fmac_f32_e32 v49, 0xbf737871, v39
	v_fmac_f32_e32 v22, 0x3f737871, v39
	v_add_f32_e32 v39, v53, v57
	v_add_f32_e32 v23, v23, v28
	v_sub_f32_e32 v44, v26, v24
	v_sub_f32_e32 v45, v28, v30
	v_fma_f32 v39, -0.5, v39, v51
	v_add_f32_e32 v23, v23, v30
	v_fmac_f32_e32 v49, 0x3f167918, v35
	v_add_f32_e32 v44, v44, v45
	v_fmac_f32_e32 v22, 0xbf167918, v35
	v_sub_f32_e32 v24, v24, v30
	v_mov_b32_e32 v30, v39
	v_fmac_f32_e32 v49, 0x3e9e377a, v44
	v_fmac_f32_e32 v22, 0x3e9e377a, v44
	v_fmac_f32_e32 v30, 0xbf737871, v24
	v_sub_f32_e32 v26, v26, v28
	v_sub_f32_e32 v28, v48, v53
	v_sub_f32_e32 v44, v61, v57
	v_fmac_f32_e32 v39, 0x3f737871, v24
	v_fmac_f32_e32 v30, 0xbf167918, v26
	v_add_f32_e32 v28, v28, v44
	v_fmac_f32_e32 v39, 0x3f167918, v26
	v_fmac_f32_e32 v30, 0x3e9e377a, v28
	;; [unrolled: 1-line block ×3, first 2 shown]
	v_add_f32_e32 v28, v48, v61
	v_add_f32_e32 v35, v51, v48
	v_fmac_f32_e32 v51, -0.5, v28
	v_mov_b32_e32 v28, v51
	v_fmac_f32_e32 v28, 0x3f737871, v26
	v_fmac_f32_e32 v51, 0xbf737871, v26
	v_fmac_f32_e32 v28, 0xbf167918, v24
	v_sub_f32_e32 v44, v53, v48
	v_sub_f32_e32 v45, v57, v61
	v_fmac_f32_e32 v51, 0x3f167918, v24
	v_mul_f32_e32 v24, 0x3f167918, v30
	v_add_f32_e32 v44, v44, v45
	v_fmac_f32_e32 v24, 0x3f4f1bbd, v36
	v_mul_f32_e32 v36, 0xbf167918, v36
	v_fmac_f32_e32 v28, 0x3e9e377a, v44
	v_fmac_f32_e32 v51, 0x3e9e377a, v44
	;; [unrolled: 1-line block ×3, first 2 shown]
	v_mul_f32_e32 v30, 0xbf737871, v49
	v_add_f32_e32 v33, v33, v50
	v_add_f32_e32 v35, v35, v53
	v_mul_f32_e32 v26, 0x3f737871, v28
	v_mul_f32_e32 v45, 0x3e9e377a, v22
	v_fmac_f32_e32 v30, 0x3e9e377a, v28
	v_mul_f32_e32 v28, 0x3e9e377a, v51
	v_add_f32_e32 v33, v33, v55
	v_add_f32_e32 v35, v35, v57
	v_fma_f32 v55, v51, s14, -v45
	v_mul_f32_e32 v45, 0x3f4f1bbd, v25
	v_fma_f32 v22, v22, s12, -v28
	v_mul_f32_e32 v28, 0x3f4f1bbd, v39
	v_add_f32_e32 v33, v33, v59
	v_add_f32_e32 v35, v35, v61
	v_fmac_f32_e32 v26, 0x3e9e377a, v49
	v_fma_f32 v57, v39, s15, -v45
	v_fma_f32 v25, v25, s13, -v28
	v_add_f32_e32 v44, v31, v23
	v_add_f32_e32 v46, v37, v24
	;; [unrolled: 1-line block ×10, first 2 shown]
	v_sub_f32_e32 v54, v31, v23
	v_sub_f32_e32 v56, v37, v24
	;; [unrolled: 1-line block ×10, first 2 shown]
	ds_write2_b64 v78, v[44:45], v[46:47] offset1:13
	ds_write2_b64 v78, v[48:49], v[50:51] offset0:26 offset1:39
	ds_write2_b64 v78, v[52:53], v[54:55] offset0:52 offset1:65
	;; [unrolled: 1-line block ×4, first 2 shown]
	s_waitcnt lgkmcnt(0)
	s_barrier
	s_and_saveexec_b64 s[12:13], s[0:1]
	s_cbranch_execz .LBB0_9
; %bb.8:
	ds_read2_b64 v[44:47], v75 offset1:130
	ds_read2_b64 v[48:51], v13 offset0:4 offset1:134
	v_add_u32_e32 v13, 0x1000, v75
	ds_read2_b64 v[52:55], v13 offset0:8 offset1:138
	v_add_u32_e32 v13, 0x1800, v75
	;; [unrolled: 2-line block ×3, first 2 shown]
	ds_read2_b64 v[60:63], v13 offset0:16 offset1:146
	ds_read2_b64 v[40:43], v12 offset0:20 offset1:150
	ds_read_b64 v[64:65], v75 offset:12480
.LBB0_9:
	s_or_b64 exec, exec, s[12:13]
	v_add_u32_e32 v12, 0xffffff7e, v76
	v_cndmask_b32_e64 v12, v12, v76, s[0:1]
	v_mul_hi_i32_i24_e32 v13, 0x60, v12
	v_mul_i32_i24_e32 v12, 0x60, v12
	v_mov_b32_e32 v14, s3
	v_add_co_u32_e32 v66, vcc, s2, v12
	v_addc_co_u32_e32 v67, vcc, v14, v13, vcc
	global_load_dwordx4 v[28:31], v[66:67], off offset:936
	global_load_dwordx4 v[24:27], v[66:67], off offset:952
	;; [unrolled: 1-line block ×6, first 2 shown]
	s_mov_b32 s2, 0x3f62ad3f
	s_mov_b32 s12, 0x3f116cb1
	;; [unrolled: 1-line block ×6, first 2 shown]
	s_waitcnt vmcnt(5) lgkmcnt(6)
	v_mul_f32_e32 v66, v47, v29
	v_mul_f32_e32 v67, v46, v29
	s_waitcnt lgkmcnt(5)
	v_mul_f32_e32 v71, v49, v31
	v_mul_f32_e32 v72, v48, v31
	s_waitcnt vmcnt(1) lgkmcnt(1)
	v_mul_f32_e32 v92, v40, v35
	s_waitcnt vmcnt(0)
	v_mul_f32_e32 v94, v42, v37
	v_fma_f32 v46, v46, v28, -v66
	v_fmac_f32_e32 v67, v47, v28
	v_mul_f32_e32 v73, v51, v25
	v_mul_f32_e32 v74, v50, v25
	;; [unrolled: 1-line block ×4, first 2 shown]
	v_fma_f32 v47, v48, v30, -v71
	v_fmac_f32_e32 v72, v49, v30
	v_fmac_f32_e32 v92, v41, v34
	;; [unrolled: 1-line block ×3, first 2 shown]
	v_add_f32_e32 v41, v44, v46
	v_add_f32_e32 v43, v45, v67
	v_mul_f32_e32 v79, v53, v27
	v_mul_f32_e32 v80, v52, v27
	v_fma_f32 v48, v50, v24, -v73
	v_fmac_f32_e32 v74, v51, v24
	v_add_f32_e32 v41, v41, v47
	v_add_f32_e32 v43, v43, v72
	v_mul_f32_e32 v81, v55, v21
	v_mul_f32_e32 v82, v54, v21
	v_fma_f32 v49, v52, v26, -v79
	v_fmac_f32_e32 v80, v53, v26
	;; [unrolled: 6-line block ×6, first 2 shown]
	v_add_f32_e32 v41, v41, v52
	v_add_f32_e32 v43, v43, v86
	s_waitcnt lgkmcnt(0)
	v_mul_f32_e32 v95, v65, v39
	v_fma_f32 v54, v62, v32, -v89
	v_fmac_f32_e32 v90, v63, v32
	v_add_f32_e32 v41, v41, v53
	v_add_f32_e32 v43, v43, v88
	v_fma_f32 v55, v40, v34, -v91
	v_fma_f32 v40, v64, v38, -v95
	v_add_f32_e32 v41, v41, v54
	v_add_f32_e32 v43, v43, v90
	v_mul_f32_e32 v96, v64, v39
	v_fma_f32 v42, v42, v36, -v93
	v_add_f32_e32 v56, v46, v40
	v_sub_f32_e32 v46, v46, v40
	v_add_f32_e32 v41, v41, v55
	v_add_f32_e32 v43, v43, v92
	v_fmac_f32_e32 v96, v65, v38
	v_mul_f32_e32 v60, 0xbeedf032, v46
	v_add_f32_e32 v41, v41, v42
	v_add_f32_e32 v43, v43, v94
	v_mul_f32_e32 v64, 0xbf52af12, v46
	v_mul_f32_e32 v71, 0xbf7e222b, v46
	;; [unrolled: 1-line block ×5, first 2 shown]
	v_add_f32_e32 v57, v67, v96
	v_sub_f32_e32 v58, v67, v96
	v_mov_b32_e32 v62, v60
	v_add_f32_e32 v40, v41, v40
	v_add_f32_e32 v41, v43, v96
	v_mov_b32_e32 v65, v64
	v_mov_b32_e32 v73, v71
	;; [unrolled: 1-line block ×5, first 2 shown]
	v_fmac_f32_e32 v62, 0x3f62ad3f, v57
	v_fma_f32 v60, v57, s2, -v60
	v_fmac_f32_e32 v65, 0x3f116cb1, v57
	v_fma_f32 v64, v57, s12, -v64
	;; [unrolled: 2-line block ×6, first 2 shown]
	v_mul_f32_e32 v59, 0xbeedf032, v58
	v_add_f32_e32 v43, v45, v62
	v_add_f32_e32 v60, v45, v60
	v_mul_f32_e32 v62, 0xbf52af12, v58
	v_add_f32_e32 v65, v45, v65
	v_add_f32_e32 v64, v45, v64
	;; [unrolled: 3-line block ×6, first 2 shown]
	v_add_f32_e32 v46, v47, v42
	v_sub_f32_e32 v42, v47, v42
	v_sub_f32_e32 v47, v72, v94
	v_fma_f32 v61, v56, s2, -v59
	v_fmac_f32_e32 v59, 0x3f62ad3f, v56
	v_fma_f32 v63, v56, s12, -v62
	v_fmac_f32_e32 v62, 0x3f116cb1, v56
	;; [unrolled: 2-line block ×6, first 2 shown]
	v_mul_f32_e32 v57, 0xbf52af12, v47
	v_add_f32_e32 v61, v44, v61
	v_add_f32_e32 v59, v44, v59
	;; [unrolled: 1-line block ×12, first 2 shown]
	v_fma_f32 v58, v46, s12, -v57
	v_add_f32_e32 v56, v72, v94
	v_add_f32_e32 v58, v58, v61
	v_mul_f32_e32 v61, 0xbf52af12, v42
	v_fmac_f32_e32 v57, 0x3f116cb1, v46
	v_add_f32_e32 v57, v57, v59
	v_fma_f32 v59, v56, s12, -v61
	v_add_f32_e32 v59, v59, v60
	v_mul_f32_e32 v60, 0xbf6f5d39, v47
	v_mov_b32_e32 v72, v61
	v_fma_f32 v61, v46, s13, -v60
	v_fmac_f32_e32 v72, 0x3f116cb1, v56
	v_add_f32_e32 v61, v61, v63
	v_mul_f32_e32 v63, 0xbf6f5d39, v42
	v_fmac_f32_e32 v60, 0xbeb58ec6, v46
	v_add_f32_e32 v43, v72, v43
	v_mov_b32_e32 v72, v63
	v_add_f32_e32 v60, v60, v62
	v_fma_f32 v62, v56, s13, -v63
	v_mul_f32_e32 v63, 0xbe750f2a, v47
	v_add_f32_e32 v62, v62, v64
	v_fma_f32 v64, v46, s15, -v63
	v_fmac_f32_e32 v72, 0xbeb58ec6, v56
	v_add_f32_e32 v64, v64, v67
	v_mul_f32_e32 v67, 0xbe750f2a, v42
	v_add_f32_e32 v65, v72, v65
	v_mov_b32_e32 v72, v67
	v_fmac_f32_e32 v63, 0xbf788fa5, v46
	v_fmac_f32_e32 v72, 0xbf788fa5, v56
	v_add_f32_e32 v63, v63, v66
	v_fma_f32 v66, v56, s15, -v67
	v_mul_f32_e32 v67, 0x3f29c268, v47
	v_add_f32_e32 v72, v72, v73
	v_add_f32_e32 v66, v66, v71
	v_fma_f32 v71, v46, s14, -v67
	v_mul_f32_e32 v73, 0x3f29c268, v42
	v_add_f32_e32 v71, v71, v81
	v_mov_b32_e32 v81, v73
	v_fmac_f32_e32 v67, 0xbf3f9e67, v46
	v_fmac_f32_e32 v81, 0xbf3f9e67, v56
	v_add_f32_e32 v67, v67, v79
	v_fma_f32 v73, v56, s14, -v73
	v_mul_f32_e32 v79, 0x3f7e222b, v47
	v_add_f32_e32 v81, v81, v85
	v_add_f32_e32 v73, v73, v83
	v_fma_f32 v83, v46, s3, -v79
	v_mul_f32_e32 v85, 0x3f7e222b, v42
	v_add_f32_e32 v83, v83, v89
	v_mov_b32_e32 v89, v85
	v_fmac_f32_e32 v79, 0x3df6dbef, v46
	v_fma_f32 v85, v56, s3, -v85
	v_mul_f32_e32 v47, 0x3eedf032, v47
	v_mul_f32_e32 v42, 0x3eedf032, v42
	v_add_f32_e32 v79, v79, v87
	v_add_f32_e32 v85, v85, v91
	v_fma_f32 v87, v46, s2, -v47
	v_mov_b32_e32 v91, v42
	v_fmac_f32_e32 v47, 0x3f62ad3f, v46
	v_fma_f32 v42, v56, s2, -v42
	v_add_f32_e32 v44, v47, v44
	v_add_f32_e32 v42, v42, v45
	;; [unrolled: 1-line block ×3, first 2 shown]
	v_sub_f32_e32 v47, v48, v55
	v_sub_f32_e32 v48, v74, v92
	v_mul_f32_e32 v55, 0xbf7e222b, v48
	v_fmac_f32_e32 v89, 0x3df6dbef, v56
	v_fmac_f32_e32 v91, 0x3f62ad3f, v56
	v_fma_f32 v56, v45, s3, -v55
	v_add_f32_e32 v46, v74, v92
	v_add_f32_e32 v56, v56, v58
	v_mul_f32_e32 v58, 0xbf7e222b, v47
	v_fmac_f32_e32 v55, 0x3df6dbef, v45
	v_mov_b32_e32 v74, v58
	v_add_f32_e32 v55, v55, v57
	v_fma_f32 v57, v46, s3, -v58
	v_mul_f32_e32 v58, 0xbe750f2a, v48
	v_add_f32_e32 v57, v57, v59
	v_fma_f32 v59, v45, s15, -v58
	v_fmac_f32_e32 v74, 0x3df6dbef, v46
	v_add_f32_e32 v59, v59, v61
	v_mul_f32_e32 v61, 0xbe750f2a, v47
	v_fmac_f32_e32 v58, 0xbf788fa5, v45
	v_add_f32_e32 v43, v74, v43
	v_mov_b32_e32 v74, v61
	v_add_f32_e32 v58, v58, v60
	v_fma_f32 v60, v46, s15, -v61
	v_mul_f32_e32 v61, 0x3f6f5d39, v48
	v_add_f32_e32 v60, v60, v62
	v_fma_f32 v62, v45, s13, -v61
	v_fmac_f32_e32 v74, 0xbf788fa5, v46
	v_add_f32_e32 v62, v62, v64
	v_mul_f32_e32 v64, 0x3f6f5d39, v47
	v_fmac_f32_e32 v61, 0xbeb58ec6, v45
	v_add_f32_e32 v65, v74, v65
	v_mov_b32_e32 v74, v64
	v_add_f32_e32 v61, v61, v63
	v_fma_f32 v63, v46, s13, -v64
	v_mul_f32_e32 v64, 0x3eedf032, v48
	v_add_f32_e32 v63, v63, v66
	v_fma_f32 v66, v45, s2, -v64
	v_fmac_f32_e32 v74, 0xbeb58ec6, v46
	v_add_f32_e32 v66, v66, v71
	v_mul_f32_e32 v71, 0x3eedf032, v47
	v_add_f32_e32 v72, v74, v72
	v_mov_b32_e32 v74, v71
	v_fmac_f32_e32 v64, 0x3f62ad3f, v45
	v_fmac_f32_e32 v74, 0x3f62ad3f, v46
	v_add_f32_e32 v64, v64, v67
	v_fma_f32 v67, v46, s2, -v71
	v_mul_f32_e32 v71, 0xbf52af12, v48
	v_add_f32_e32 v74, v74, v81
	v_add_f32_e32 v67, v67, v73
	v_fma_f32 v73, v45, s12, -v71
	v_mul_f32_e32 v81, 0xbf52af12, v47
	v_fmac_f32_e32 v71, 0x3f116cb1, v45
	v_mul_f32_e32 v48, 0xbf29c268, v48
	v_add_f32_e32 v73, v73, v83
	v_mov_b32_e32 v83, v81
	v_add_f32_e32 v71, v71, v79
	v_fma_f32 v79, v46, s12, -v81
	v_fma_f32 v81, v45, s14, -v48
	v_mul_f32_e32 v47, 0xbf29c268, v47
	v_fmac_f32_e32 v48, 0xbf3f9e67, v45
	v_add_f32_e32 v44, v48, v44
	v_fma_f32 v45, v46, s14, -v47
	v_sub_f32_e32 v48, v80, v90
	v_add_f32_e32 v79, v79, v85
	v_mov_b32_e32 v85, v47
	v_add_f32_e32 v42, v45, v42
	v_add_f32_e32 v45, v49, v54
	v_sub_f32_e32 v47, v49, v54
	v_mul_f32_e32 v49, 0xbf6f5d39, v48
	v_fma_f32 v54, v45, s13, -v49
	v_fmac_f32_e32 v83, 0x3f116cb1, v46
	v_fmac_f32_e32 v85, 0xbf3f9e67, v46
	v_add_f32_e32 v46, v80, v90
	v_add_f32_e32 v54, v54, v56
	v_mul_f32_e32 v56, 0xbf6f5d39, v47
	v_fmac_f32_e32 v49, 0xbeb58ec6, v45
	v_mov_b32_e32 v80, v56
	v_add_f32_e32 v49, v49, v55
	v_fma_f32 v55, v46, s13, -v56
	v_mul_f32_e32 v56, 0x3f29c268, v48
	v_add_f32_e32 v55, v55, v57
	v_fma_f32 v57, v45, s14, -v56
	v_fmac_f32_e32 v80, 0xbeb58ec6, v46
	v_add_f32_e32 v57, v57, v59
	v_mul_f32_e32 v59, 0x3f29c268, v47
	v_fmac_f32_e32 v56, 0xbf3f9e67, v45
	v_add_f32_e32 v43, v80, v43
	v_mov_b32_e32 v80, v59
	v_add_f32_e32 v56, v56, v58
	v_fma_f32 v58, v46, s14, -v59
	v_mul_f32_e32 v59, 0x3eedf032, v48
	v_add_f32_e32 v58, v58, v60
	v_fma_f32 v60, v45, s2, -v59
	v_fmac_f32_e32 v80, 0xbf3f9e67, v46
	v_add_f32_e32 v60, v60, v62
	v_mul_f32_e32 v62, 0x3eedf032, v47
	v_fmac_f32_e32 v59, 0x3f62ad3f, v45
	v_add_f32_e32 v65, v80, v65
	;; [unrolled: 11-line block ×3, first 2 shown]
	v_mov_b32_e32 v80, v66
	v_add_f32_e32 v62, v62, v64
	v_fma_f32 v64, v46, s3, -v66
	v_mul_f32_e32 v66, 0x3e750f2a, v48
	v_add_f32_e32 v64, v64, v67
	v_fma_f32 v67, v45, s15, -v66
	v_fmac_f32_e32 v80, 0x3df6dbef, v46
	v_add_f32_e32 v67, v67, v73
	v_mul_f32_e32 v73, 0x3e750f2a, v47
	v_fmac_f32_e32 v66, 0xbf788fa5, v45
	v_mul_f32_e32 v48, 0x3f52af12, v48
	v_add_f32_e32 v74, v80, v74
	v_mov_b32_e32 v80, v73
	v_add_f32_e32 v66, v66, v71
	v_fma_f32 v71, v46, s15, -v73
	v_fma_f32 v73, v45, s12, -v48
	v_mul_f32_e32 v47, 0x3f52af12, v47
	v_fmac_f32_e32 v48, 0x3f116cb1, v45
	v_add_f32_e32 v44, v48, v44
	v_fma_f32 v45, v46, s12, -v47
	v_sub_f32_e32 v48, v82, v88
	v_add_f32_e32 v71, v71, v79
	v_mov_b32_e32 v79, v47
	v_add_f32_e32 v42, v45, v42
	v_add_f32_e32 v45, v50, v53
	v_sub_f32_e32 v47, v50, v53
	v_mul_f32_e32 v50, 0xbf29c268, v48
	v_add_f32_e32 v87, v87, v95
	v_fma_f32 v53, v45, s14, -v50
	v_add_f32_e32 v81, v81, v87
	v_fmac_f32_e32 v80, 0xbf788fa5, v46
	v_fmac_f32_e32 v79, 0x3f116cb1, v46
	v_add_f32_e32 v46, v82, v88
	v_add_f32_e32 v53, v53, v54
	v_mul_f32_e32 v54, 0xbf29c268, v47
	v_fmac_f32_e32 v50, 0xbf3f9e67, v45
	v_add_f32_e32 v73, v73, v81
	v_mov_b32_e32 v81, v54
	v_add_f32_e32 v49, v50, v49
	v_fma_f32 v50, v46, s14, -v54
	v_mul_f32_e32 v54, 0x3f7e222b, v48
	v_add_f32_e32 v50, v50, v55
	v_fma_f32 v55, v45, s3, -v54
	v_fmac_f32_e32 v81, 0xbf3f9e67, v46
	v_add_f32_e32 v55, v55, v57
	v_mul_f32_e32 v57, 0x3f7e222b, v47
	v_fmac_f32_e32 v54, 0x3df6dbef, v45
	v_add_f32_e32 v43, v81, v43
	v_mov_b32_e32 v81, v57
	v_add_f32_e32 v54, v54, v56
	v_fma_f32 v56, v46, s3, -v57
	v_mul_f32_e32 v57, 0xbf52af12, v48
	v_add_f32_e32 v56, v56, v58
	v_fma_f32 v58, v45, s12, -v57
	v_fmac_f32_e32 v81, 0x3df6dbef, v46
	;; [unrolled: 11-line block ×3, first 2 shown]
	v_add_f32_e32 v61, v61, v63
	v_mul_f32_e32 v63, 0x3e750f2a, v47
	v_fmac_f32_e32 v60, 0xbf788fa5, v45
	v_add_f32_e32 v81, v81, v72
	v_mov_b32_e32 v72, v63
	v_add_f32_e32 v60, v60, v62
	v_fma_f32 v62, v46, s15, -v63
	v_mul_f32_e32 v63, 0x3eedf032, v48
	v_add_f32_e32 v62, v62, v64
	v_fma_f32 v64, v45, s2, -v63
	v_add_f32_e32 v64, v64, v67
	v_mul_f32_e32 v67, 0x3eedf032, v47
	v_fmac_f32_e32 v63, 0x3f62ad3f, v45
	v_add_f32_e32 v91, v91, v96
	v_add_f32_e32 v63, v63, v66
	v_fma_f32 v66, v46, s2, -v67
	v_mul_f32_e32 v47, 0xbf6f5d39, v47
	v_add_f32_e32 v85, v85, v91
	v_fmac_f32_e32 v72, 0xbf788fa5, v46
	v_add_f32_e32 v66, v66, v71
	v_mul_f32_e32 v48, 0xbf6f5d39, v48
	v_mov_b32_e32 v71, v47
	v_add_f32_e32 v89, v89, v93
	v_add_f32_e32 v79, v79, v85
	;; [unrolled: 1-line block ×3, first 2 shown]
	v_mov_b32_e32 v72, v67
	v_fma_f32 v67, v45, s13, -v48
	v_fmac_f32_e32 v71, 0xbeb58ec6, v46
	v_fmac_f32_e32 v48, 0xbeb58ec6, v45
	v_sub_f32_e32 v87, v51, v52
	v_add_f32_e32 v83, v83, v89
	v_add_f32_e32 v67, v67, v73
	;; [unrolled: 1-line block ×4, first 2 shown]
	v_fma_f32 v44, v46, s13, -v47
	v_add_f32_e32 v85, v84, v86
	v_sub_f32_e32 v84, v84, v86
	v_mul_f32_e32 v45, 0xbe750f2a, v87
	v_add_f32_e32 v80, v80, v83
	v_fmac_f32_e32 v72, 0x3f62ad3f, v46
	v_add_f32_e32 v82, v44, v42
	v_add_f32_e32 v83, v51, v52
	v_mul_f32_e32 v44, 0xbe750f2a, v84
	v_mov_b32_e32 v46, v45
	v_fma_f32 v42, v83, s15, -v44
	v_fmac_f32_e32 v46, 0xbf788fa5, v85
	v_fmac_f32_e32 v44, 0xbf788fa5, v83
	v_add_f32_e32 v43, v46, v43
	v_add_f32_e32 v71, v44, v49
	v_fma_f32 v44, v85, s15, -v45
	v_mul_f32_e32 v46, 0x3eedf032, v84
	v_add_f32_e32 v80, v72, v80
	v_add_f32_e32 v72, v44, v50
	v_fma_f32 v44, v83, s2, -v46
	v_mul_f32_e32 v47, 0x3eedf032, v87
	v_fmac_f32_e32 v46, 0x3f62ad3f, v83
	v_add_f32_e32 v54, v46, v54
	v_fma_f32 v46, v85, s2, -v47
	v_mul_f32_e32 v48, 0xbf29c268, v84
	v_add_f32_e32 v44, v44, v55
	v_add_f32_e32 v55, v46, v56
	v_fma_f32 v46, v83, s14, -v48
	v_mul_f32_e32 v49, 0xbf29c268, v87
	v_fmac_f32_e32 v48, 0xbf3f9e67, v83
	;; [unrolled: 8-line block ×3, first 2 shown]
	v_add_f32_e32 v46, v46, v58
	v_add_f32_e32 v58, v50, v60
	v_fma_f32 v50, v85, s12, -v51
	v_mul_f32_e32 v56, 0xbf6f5d39, v84
	v_add_f32_e32 v59, v50, v62
	v_fma_f32 v50, v83, s13, -v56
	v_fmac_f32_e32 v56, 0xbeb58ec6, v83
	v_mul_f32_e32 v57, 0xbf6f5d39, v87
	v_add_f32_e32 v56, v56, v63
	v_mul_f32_e32 v63, 0x3f7e222b, v87
	v_mov_b32_e32 v45, v47
	v_mov_b32_e32 v47, v49
	v_add_f32_e32 v48, v48, v61
	v_mov_b32_e32 v49, v51
	v_mov_b32_e32 v51, v57
	v_mul_f32_e32 v62, 0x3f7e222b, v84
	v_mov_b32_e32 v61, v63
	v_fmac_f32_e32 v45, 0x3f62ad3f, v85
	v_fmac_f32_e32 v47, 0xbf3f9e67, v85
	;; [unrolled: 1-line block ×4, first 2 shown]
	v_fma_f32 v57, v85, s13, -v57
	v_fma_f32 v60, v83, s3, -v62
	v_fmac_f32_e32 v61, 0x3df6dbef, v85
	v_fmac_f32_e32 v62, 0x3df6dbef, v83
	v_fma_f32 v63, v85, s3, -v63
	v_add_f32_e32 v45, v45, v65
	v_add_f32_e32 v47, v47, v81
	;; [unrolled: 1-line block ×10, first 2 shown]
	s_and_saveexec_b64 s[2:3], s[0:1]
	s_cbranch_execz .LBB0_11
; %bb.10:
	v_add_u32_e32 v64, 0x800, v75
	ds_write2_b64 v64, v[44:45], v[46:47] offset0:4 offset1:134
	v_add_u32_e32 v64, 0x1000, v75
	ds_write2_b64 v64, v[48:49], v[50:51] offset0:8 offset1:138
	;; [unrolled: 2-line block ×4, first 2 shown]
	v_add_u32_e32 v64, 0x2800, v75
	ds_write2_b64 v75, v[40:41], v[42:43] offset1:130
	ds_write2_b64 v64, v[52:53], v[54:55] offset0:20 offset1:150
	ds_write_b64 v75, v[71:72] offset:12480
.LBB0_11:
	s_or_b64 exec, exec, s[2:3]
	s_waitcnt lgkmcnt(0)
	s_barrier
	s_and_saveexec_b64 s[2:3], s[0:1]
	s_cbranch_execz .LBB0_13
; %bb.12:
	v_add_co_u32_e32 v83, vcc, s10, v75
	v_mov_b32_e32 v64, s11
	v_addc_co_u32_e32 v84, vcc, 0, v64, vcc
	v_add_co_u32_e32 v73, vcc, 0x34d0, v83
	v_addc_co_u32_e32 v74, vcc, 0, v84, vcc
	v_add_co_u32_e32 v66, vcc, 0x3000, v83
	v_addc_co_u32_e32 v67, vcc, 0, v84, vcc
	global_load_dwordx2 v[66:67], v[66:67], off offset:1232
	ds_read_b64 v[64:65], v75
	v_add_u32_e32 v85, 0x400, v75
	s_movk_i32 s12, 0x4000
	s_waitcnt vmcnt(0) lgkmcnt(0)
	v_mul_f32_e32 v79, v65, v67
	v_mul_f32_e32 v80, v64, v67
	v_fma_f32 v79, v64, v66, -v79
	v_fmac_f32_e32 v80, v65, v66
	ds_write_b64 v75, v[79:80]
	global_load_dwordx2 v[79:80], v[73:74], off offset:1040
	ds_read2_b64 v[64:67], v85 offset0:2 offset1:132
	s_waitcnt vmcnt(0) lgkmcnt(0)
	v_mul_f32_e32 v81, v65, v80
	v_mul_f32_e32 v82, v64, v80
	v_fma_f32 v81, v64, v79, -v81
	v_fmac_f32_e32 v82, v65, v79
	global_load_dwordx2 v[64:65], v[73:74], off offset:2080
	s_waitcnt vmcnt(0)
	v_mul_f32_e32 v79, v67, v65
	global_load_dwordx2 v[73:74], v[73:74], off offset:3120
	v_mul_f32_e32 v80, v66, v65
	v_fma_f32 v79, v66, v64, -v79
	v_fmac_f32_e32 v80, v67, v64
	ds_write2_b64 v85, v[81:82], v[79:80] offset0:2 offset1:132
	v_add_u32_e32 v85, 0xc00, v75
	ds_read2_b64 v[64:67], v85 offset0:6 offset1:136
	s_waitcnt vmcnt(0) lgkmcnt(0)
	v_mul_f32_e32 v79, v65, v74
	v_mul_f32_e32 v80, v64, v74
	v_fma_f32 v79, v64, v73, -v79
	v_fmac_f32_e32 v80, v65, v73
	v_add_co_u32_e32 v73, vcc, s12, v83
	v_addc_co_u32_e32 v74, vcc, 0, v84, vcc
	global_load_dwordx2 v[64:65], v[73:74], off offset:1296
	s_movk_i32 s12, 0x5000
	s_waitcnt vmcnt(0)
	v_mul_f32_e32 v81, v67, v65
	v_mul_f32_e32 v82, v66, v65
	v_fma_f32 v81, v66, v64, -v81
	v_fmac_f32_e32 v82, v67, v64
	ds_write2_b64 v85, v[79:80], v[81:82] offset0:6 offset1:136
	global_load_dwordx2 v[79:80], v[73:74], off offset:2336
	v_add_u32_e32 v85, 0x1400, v75
	ds_read2_b64 v[64:67], v85 offset0:10 offset1:140
	s_waitcnt vmcnt(0) lgkmcnt(0)
	v_mul_f32_e32 v81, v65, v80
	v_mul_f32_e32 v82, v64, v80
	v_fma_f32 v81, v64, v79, -v81
	v_fmac_f32_e32 v82, v65, v79
	global_load_dwordx2 v[64:65], v[73:74], off offset:3376
	s_waitcnt vmcnt(0)
	v_mul_f32_e32 v73, v67, v65
	v_mul_f32_e32 v74, v66, v65
	v_fma_f32 v73, v66, v64, -v73
	v_fmac_f32_e32 v74, v67, v64
	ds_write2_b64 v85, v[81:82], v[73:74] offset0:10 offset1:140
	v_add_co_u32_e32 v73, vcc, s12, v83
	v_addc_co_u32_e32 v74, vcc, 0, v84, vcc
	global_load_dwordx2 v[79:80], v[73:74], off offset:320
	v_add_u32_e32 v85, 0x1c00, v75
	ds_read2_b64 v[64:67], v85 offset0:14 offset1:144
	s_movk_i32 s12, 0x6000
	s_waitcnt vmcnt(0) lgkmcnt(0)
	v_mul_f32_e32 v81, v65, v80
	v_mul_f32_e32 v82, v64, v80
	v_fma_f32 v81, v64, v79, -v81
	v_fmac_f32_e32 v82, v65, v79
	global_load_dwordx2 v[64:65], v[73:74], off offset:1360
	s_waitcnt vmcnt(0)
	v_mul_f32_e32 v79, v67, v65
	v_mul_f32_e32 v80, v66, v65
	v_fma_f32 v79, v66, v64, -v79
	v_fmac_f32_e32 v80, v67, v64
	ds_write2_b64 v85, v[81:82], v[79:80] offset0:14 offset1:144
	global_load_dwordx2 v[79:80], v[73:74], off offset:2400
	v_add_u32_e32 v85, 0x2400, v75
	ds_read2_b64 v[64:67], v85 offset0:18 offset1:148
	s_waitcnt vmcnt(0) lgkmcnt(0)
	v_mul_f32_e32 v81, v65, v80
	v_mul_f32_e32 v82, v64, v80
	v_fma_f32 v81, v64, v79, -v81
	v_fmac_f32_e32 v82, v65, v79
	global_load_dwordx2 v[64:65], v[73:74], off offset:3440
	s_waitcnt vmcnt(0)
	v_mul_f32_e32 v73, v67, v65
	v_mul_f32_e32 v74, v66, v65
	v_fma_f32 v73, v66, v64, -v73
	v_fmac_f32_e32 v74, v67, v64
	ds_write2_b64 v85, v[81:82], v[73:74] offset0:18 offset1:148
	v_add_co_u32_e32 v73, vcc, s12, v83
	v_addc_co_u32_e32 v74, vcc, 0, v84, vcc
	global_load_dwordx2 v[79:80], v[73:74], off offset:384
	v_add_u32_e32 v85, 0x2c00, v75
	ds_read2_b64 v[64:67], v85 offset0:22 offset1:152
	s_waitcnt vmcnt(0) lgkmcnt(0)
	v_mul_f32_e32 v81, v65, v80
	v_mul_f32_e32 v82, v64, v80
	v_fma_f32 v81, v64, v79, -v81
	v_fmac_f32_e32 v82, v65, v79
	global_load_dwordx2 v[64:65], v[73:74], off offset:1424
	s_waitcnt vmcnt(0)
	v_mul_f32_e32 v73, v67, v65
	v_mul_f32_e32 v74, v66, v65
	v_fma_f32 v73, v66, v64, -v73
	v_fmac_f32_e32 v74, v67, v64
	ds_write2_b64 v85, v[81:82], v[73:74] offset0:22 offset1:152
.LBB0_13:
	s_or_b64 exec, exec, s[2:3]
	s_waitcnt lgkmcnt(0)
	s_barrier
	s_and_saveexec_b64 s[2:3], s[0:1]
	s_cbranch_execz .LBB0_15
; %bb.14:
	v_add_u32_e32 v52, 0x1800, v75
	ds_read2_b64 v[60:63], v52 offset0:12 offset1:142
	v_add_u32_e32 v52, 0x2000, v75
	v_add_u32_e32 v44, 0x800, v75
	;; [unrolled: 1-line block ×3, first 2 shown]
	ds_read2_b64 v[56:59], v52 offset0:16 offset1:146
	v_add_u32_e32 v52, 0x2800, v75
	ds_read2_b64 v[40:43], v75 offset1:130
	ds_read2_b64 v[44:47], v44 offset0:4 offset1:134
	ds_read2_b64 v[48:51], v48 offset0:8 offset1:138
	;; [unrolled: 1-line block ×3, first 2 shown]
	ds_read_b64 v[71:72], v75 offset:12480
.LBB0_15:
	s_or_b64 exec, exec, s[2:3]
	s_waitcnt lgkmcnt(0)
	v_sub_f32_e32 v105, v43, v72
	v_add_f32_e32 v79, v71, v42
	v_add_f32_e32 v111, v72, v43
	s_mov_b32 s12, 0x3f62ad3f
	v_mul_f32_e32 v89, 0xbeedf032, v105
	v_sub_f32_e32 v113, v45, v55
	v_mul_f32_e32 v91, 0x3f62ad3f, v111
	v_fma_f32 v64, v79, s12, -v89
	s_mov_b32 s13, 0x3f116cb1
	v_add_f32_e32 v81, v54, v44
	v_add_f32_e32 v119, v55, v45
	v_mul_f32_e32 v93, 0xbf52af12, v113
	v_sub_f32_e32 v80, v42, v71
	v_add_f32_e32 v64, v40, v64
	v_mov_b32_e32 v65, v91
	v_mul_f32_e32 v95, 0x3f116cb1, v119
	v_fma_f32 v83, v81, s13, -v93
	v_fmac_f32_e32 v65, 0xbeedf032, v80
	v_mul_f32_e32 v94, 0xbf52af12, v105
	v_sub_f32_e32 v82, v44, v54
	v_add_f32_e32 v64, v83, v64
	v_mov_b32_e32 v83, v95
	v_add_f32_e32 v65, v41, v65
	v_mul_f32_e32 v96, 0x3f116cb1, v111
	v_fma_f32 v66, v79, s13, -v94
	v_fmac_f32_e32 v83, 0xbf52af12, v82
	s_mov_b32 s15, 0xbeb58ec6
	v_mul_f32_e32 v98, 0xbf6f5d39, v113
	v_add_f32_e32 v66, v40, v66
	v_mov_b32_e32 v67, v96
	v_add_f32_e32 v65, v83, v65
	v_mul_f32_e32 v101, 0xbeb58ec6, v119
	v_fma_f32 v83, v81, s15, -v98
	v_fmac_f32_e32 v67, 0xbf52af12, v80
	s_mov_b32 s14, 0x3df6dbef
	v_mul_f32_e32 v100, 0xbf7e222b, v105
	v_add_f32_e32 v66, v83, v66
	v_mov_b32_e32 v83, v101
	v_add_f32_e32 v67, v41, v67
	v_mul_f32_e32 v103, 0x3df6dbef, v111
	v_fma_f32 v73, v79, s14, -v100
	v_fmac_f32_e32 v83, 0xbf6f5d39, v82
	v_mul_f32_e32 v107, 0xbe750f2a, v113
	v_add_f32_e32 v73, v40, v73
	v_mov_b32_e32 v74, v103
	v_add_f32_e32 v67, v83, v67
	v_mul_f32_e32 v110, 0xbf788fa5, v119
	v_fma_f32 v83, v81, s16, -v107
	v_fmac_f32_e32 v74, 0xbf7e222b, v80
	v_add_f32_e32 v73, v83, v73
	v_mov_b32_e32 v83, v110
	v_add_f32_e32 v74, v41, v74
	v_fmac_f32_e32 v83, 0xbe750f2a, v82
	v_sub_f32_e32 v121, v47, v53
	v_add_f32_e32 v74, v83, v74
	v_add_f32_e32 v83, v52, v46
	v_add_f32_e32 v127, v53, v47
	v_mul_f32_e32 v97, 0xbf7e222b, v121
	v_mul_f32_e32 v99, 0x3df6dbef, v127
	v_fma_f32 v85, v83, s14, -v97
	v_sub_f32_e32 v84, v46, v52
	v_add_f32_e32 v64, v85, v64
	v_mov_b32_e32 v85, v99
	v_fmac_f32_e32 v85, 0xbf7e222b, v84
	v_mul_f32_e32 v104, 0xbe750f2a, v121
	v_add_f32_e32 v65, v85, v65
	v_mul_f32_e32 v108, 0xbf788fa5, v127
	v_fma_f32 v85, v83, s16, -v104
	v_add_f32_e32 v66, v85, v66
	v_mov_b32_e32 v85, v108
	v_fmac_f32_e32 v85, 0xbe750f2a, v84
	v_mul_f32_e32 v115, 0x3f6f5d39, v121
	v_add_f32_e32 v67, v85, v67
	v_mul_f32_e32 v118, 0xbeb58ec6, v127
	v_fma_f32 v85, v83, s15, -v115
	v_add_f32_e32 v73, v85, v73
	v_mov_b32_e32 v85, v118
	v_fmac_f32_e32 v85, 0x3f6f5d39, v84
	v_sub_f32_e32 v126, v49, v59
	v_add_f32_e32 v74, v85, v74
	v_add_f32_e32 v85, v58, v48
	v_add_f32_e32 v131, v59, v49
	v_mul_f32_e32 v102, 0xbf6f5d39, v126
	v_mul_f32_e32 v106, 0xbeb58ec6, v131
	v_fma_f32 v87, v85, s15, -v102
	v_sub_f32_e32 v86, v48, v58
	v_add_f32_e32 v64, v87, v64
	v_mov_b32_e32 v87, v106
	v_fmac_f32_e32 v87, 0xbf6f5d39, v86
	v_mul_f32_e32 v112, 0x3f29c268, v126
	v_add_f32_e32 v65, v87, v65
	v_mul_f32_e32 v116, 0xbf3f9e67, v131
	v_fma_f32 v87, v85, s17, -v112
	v_add_f32_e32 v66, v87, v66
	v_mov_b32_e32 v87, v116
	v_fmac_f32_e32 v87, 0x3f29c268, v86
	v_mul_f32_e32 v123, 0x3eedf032, v126
	v_add_f32_e32 v67, v87, v67
	v_mul_f32_e32 v125, 0x3f62ad3f, v131
	v_fma_f32 v87, v85, s12, -v123
	v_add_f32_e32 v73, v87, v73
	v_mov_b32_e32 v87, v125
	;; [unrolled: 25-line block ×3, first 2 shown]
	v_sub_f32_e32 v135, v61, v63
	v_fmac_f32_e32 v73, 0xbf52af12, v88
	v_add_f32_e32 v90, v62, v60
	v_add_f32_e32 v138, v63, v61
	v_mul_f32_e32 v117, 0xbe750f2a, v135
	v_add_f32_e32 v140, v73, v74
	v_mul_f32_e32 v122, 0xbf788fa5, v138
	v_fma_f32 v73, v90, s16, -v117
	v_sub_f32_e32 v92, v60, v62
	v_add_f32_e32 v73, v73, v64
	v_mov_b32_e32 v64, v122
	v_fmac_f32_e32 v64, 0xbe750f2a, v92
	v_mul_f32_e32 v128, 0x3eedf032, v135
	v_add_f32_e32 v74, v64, v65
	v_mul_f32_e32 v130, 0x3f62ad3f, v138
	v_fma_f32 v64, v90, s12, -v128
	v_add_f32_e32 v66, v64, v66
	v_mov_b32_e32 v64, v130
	v_mul_f32_e32 v137, 0xbf3f9e67, v138
	v_fmac_f32_e32 v64, 0x3eedf032, v92
	v_mul_f32_e32 v134, 0xbf29c268, v135
	v_mov_b32_e32 v65, v137
	v_add_f32_e32 v67, v64, v67
	v_fma_f32 v64, v90, s17, -v134
	v_fmac_f32_e32 v65, 0xbf29c268, v92
	v_add_f32_e32 v64, v64, v139
	v_add_f32_e32 v65, v65, v140
	s_barrier
	s_and_saveexec_b64 s[2:3], s[0:1]
	s_cbranch_execz .LBB0_17
; %bb.16:
	v_mul_f32_e32 v179, 0xbf788fa5, v111
	v_mov_b32_e32 v139, v179
	v_mul_f32_e32 v180, 0x3f62ad3f, v119
	v_fmac_f32_e32 v139, 0x3e750f2a, v80
	v_mov_b32_e32 v140, v180
	v_add_f32_e32 v139, v41, v139
	v_fmac_f32_e32 v140, 0xbeedf032, v82
	v_mul_f32_e32 v181, 0xbf3f9e67, v127
	v_add_f32_e32 v139, v140, v139
	v_mov_b32_e32 v140, v181
	v_fmac_f32_e32 v140, 0x3f29c268, v84
	v_mul_f32_e32 v182, 0x3f116cb1, v131
	v_add_f32_e32 v139, v140, v139
	v_mov_b32_e32 v140, v182
	v_fmac_f32_e32 v140, 0xbf52af12, v86
	v_mul_f32_e32 v183, 0xbeb58ec6, v136
	v_add_f32_e32 v139, v140, v139
	v_mov_b32_e32 v140, v183
	v_fmac_f32_e32 v140, 0x3f6f5d39, v88
	v_mul_f32_e32 v184, 0x3df6dbef, v138
	v_add_f32_e32 v139, v140, v139
	v_mov_b32_e32 v140, v184
	v_fmac_f32_e32 v140, 0xbf7e222b, v92
	v_mul_f32_e32 v185, 0xbe750f2a, v105
	v_add_f32_e32 v140, v140, v139
	v_mov_b32_e32 v139, v185
	v_mul_f32_e32 v186, 0x3eedf032, v113
	v_fmac_f32_e32 v139, 0xbf788fa5, v79
	v_mov_b32_e32 v141, v186
	v_add_f32_e32 v139, v40, v139
	v_fmac_f32_e32 v141, 0x3f62ad3f, v81
	v_mul_f32_e32 v187, 0xbf29c268, v121
	v_add_f32_e32 v139, v141, v139
	v_mov_b32_e32 v141, v187
	v_fmac_f32_e32 v141, 0xbf3f9e67, v83
	v_mul_f32_e32 v188, 0x3f52af12, v126
	v_add_f32_e32 v139, v141, v139
	v_mov_b32_e32 v141, v188
	v_fmac_f32_e32 v141, 0x3f116cb1, v85
	v_mul_f32_e32 v189, 0xbf6f5d39, v132
	v_add_f32_e32 v139, v141, v139
	v_mov_b32_e32 v141, v189
	v_fmac_f32_e32 v141, 0xbeb58ec6, v87
	v_mul_f32_e32 v190, 0x3f7e222b, v135
	v_add_f32_e32 v139, v141, v139
	v_mov_b32_e32 v141, v190
	v_fmac_f32_e32 v141, 0x3df6dbef, v90
	v_mul_f32_e32 v191, 0xbf3f9e67, v111
	v_add_f32_e32 v139, v141, v139
	;; [unrolled: 24-line block ×3, first 2 shown]
	v_mov_b32_e32 v141, v197
	v_mul_f32_e32 v198, 0x3f7e222b, v113
	v_fmac_f32_e32 v141, 0xbf3f9e67, v79
	v_mov_b32_e32 v199, v198
	v_add_f32_e32 v141, v40, v141
	v_fmac_f32_e32 v199, 0x3df6dbef, v81
	v_add_f32_e32 v141, v199, v141
	v_mul_f32_e32 v199, 0xbf52af12, v121
	v_mov_b32_e32 v200, v199
	v_fmac_f32_e32 v200, 0x3f116cb1, v83
	v_add_f32_e32 v141, v200, v141
	v_mul_f32_e32 v200, 0x3e750f2a, v126
	v_mov_b32_e32 v201, v200
	v_fmac_f32_e32 v201, 0xbf788fa5, v85
	v_add_f32_e32 v141, v201, v141
	v_mul_f32_e32 v201, 0x3eedf032, v132
	v_mov_b32_e32 v202, v201
	v_fmac_f32_e32 v202, 0x3f62ad3f, v87
	v_add_f32_e32 v141, v202, v141
	v_mul_f32_e32 v202, 0xbf6f5d39, v135
	v_mov_b32_e32 v203, v202
	v_fmac_f32_e32 v203, 0xbeb58ec6, v90
	v_add_f32_e32 v141, v203, v141
	v_mul_f32_e32 v203, 0xbeb58ec6, v111
	v_mov_b32_e32 v111, v203
	v_mul_f32_e32 v119, 0xbf3f9e67, v119
	v_fmac_f32_e32 v111, 0x3f6f5d39, v80
	v_mov_b32_e32 v204, v119
	v_add_f32_e32 v111, v41, v111
	v_fmac_f32_e32 v204, 0xbf29c268, v82
	v_add_f32_e32 v111, v204, v111
	v_mul_f32_e32 v204, 0x3f62ad3f, v127
	v_mov_b32_e32 v127, v204
	v_fmac_f32_e32 v127, 0xbeedf032, v84
	v_mul_f32_e32 v131, 0x3df6dbef, v131
	v_add_f32_e32 v111, v127, v111
	v_mov_b32_e32 v127, v131
	v_fmac_f32_e32 v127, 0x3f7e222b, v86
	v_mul_f32_e32 v136, 0xbf788fa5, v136
	v_add_f32_e32 v111, v127, v111
	;; [unrolled: 4-line block ×4, first 2 shown]
	v_mov_b32_e32 v111, v105
	v_mul_f32_e32 v113, 0x3f29c268, v113
	v_fmac_f32_e32 v111, 0xbeb58ec6, v79
	v_mov_b32_e32 v205, v113
	v_add_f32_e32 v111, v40, v111
	v_fmac_f32_e32 v205, 0xbf3f9e67, v81
	v_mul_f32_e32 v121, 0x3eedf032, v121
	v_add_f32_e32 v111, v205, v111
	v_mov_b32_e32 v205, v121
	v_fmac_f32_e32 v205, 0x3f62ad3f, v83
	v_mul_f32_e32 v148, 0xbf7e222b, v80
	v_add_f32_e32 v111, v205, v111
	v_mul_f32_e32 v205, 0xbf7e222b, v126
	v_mul_f32_e32 v154, 0xbe750f2a, v82
	v_mov_b32_e32 v126, v205
	v_sub_f32_e32 v103, v103, v148
	v_mul_f32_e32 v160, 0x3f6f5d39, v84
	v_fmac_f32_e32 v126, 0x3df6dbef, v85
	v_mul_f32_e32 v132, 0x3e750f2a, v132
	v_add_f32_e32 v103, v41, v103
	v_sub_f32_e32 v110, v110, v154
	v_mul_f32_e32 v166, 0x3eedf032, v86
	v_add_f32_e32 v111, v126, v111
	v_mov_b32_e32 v126, v132
	v_add_f32_e32 v103, v110, v103
	v_sub_f32_e32 v110, v118, v160
	v_add_f32_e32 v42, v42, v40
	v_fmac_f32_e32 v179, 0xbe750f2a, v80
	v_mul_f32_e32 v172, 0xbf52af12, v88
	v_fmac_f32_e32 v126, 0xbf788fa5, v87
	v_mul_f32_e32 v135, 0x3f52af12, v135
	v_add_f32_e32 v103, v110, v103
	v_sub_f32_e32 v110, v125, v166
	v_add_f32_e32 v42, v44, v42
	v_add_f32_e32 v44, v41, v179
	v_fmac_f32_e32 v180, 0x3eedf032, v82
	v_mul_f32_e32 v147, 0x3df6dbef, v79
	v_mul_f32_e32 v178, 0xbf29c268, v92
	v_add_f32_e32 v111, v126, v111
	v_mov_b32_e32 v126, v135
	v_add_f32_e32 v103, v110, v103
	v_sub_f32_e32 v110, v133, v172
	v_add_f32_e32 v44, v180, v44
	v_fmac_f32_e32 v181, 0xbf29c268, v84
	v_mul_f32_e32 v153, 0xbf788fa5, v81
	v_fmac_f32_e32 v126, 0x3f116cb1, v90
	v_add_f32_e32 v103, v110, v103
	v_sub_f32_e32 v110, v137, v178
	v_add_f32_e32 v100, v147, v100
	v_add_f32_e32 v44, v181, v44
	v_fmac_f32_e32 v182, 0x3f52af12, v86
	v_mul_f32_e32 v159, 0xbeb58ec6, v83
	v_add_f32_e32 v126, v126, v111
	v_add_f32_e32 v111, v110, v103
	;; [unrolled: 1-line block ×5, first 2 shown]
	v_fmac_f32_e32 v183, 0xbf6f5d39, v88
	v_mul_f32_e32 v165, 0x3f62ad3f, v85
	v_add_f32_e32 v100, v103, v100
	v_add_f32_e32 v103, v159, v115
	;; [unrolled: 1-line block ×4, first 2 shown]
	v_fmac_f32_e32 v184, 0x3f7e222b, v92
	v_mul_f32_e32 v171, 0x3f116cb1, v87
	v_add_f32_e32 v100, v103, v100
	v_add_f32_e32 v103, v165, v123
	;; [unrolled: 1-line block ×4, first 2 shown]
	v_fma_f32 v44, v79, s16, -v185
	v_mul_f32_e32 v146, 0xbf52af12, v80
	v_mul_f32_e32 v177, 0xbf3f9e67, v90
	v_add_f32_e32 v100, v103, v100
	v_add_f32_e32 v103, v171, v129
	;; [unrolled: 1-line block ×4, first 2 shown]
	v_fma_f32 v46, v81, s12, -v186
	v_mul_f32_e32 v152, 0xbf6f5d39, v82
	v_add_f32_e32 v100, v103, v100
	v_add_f32_e32 v103, v177, v134
	v_sub_f32_e32 v96, v96, v146
	v_add_f32_e32 v44, v46, v44
	v_fma_f32 v46, v83, s17, -v187
	v_mul_f32_e32 v158, 0xbe750f2a, v84
	v_add_f32_e32 v110, v103, v100
	v_add_f32_e32 v96, v41, v96
	v_sub_f32_e32 v100, v101, v152
	v_add_f32_e32 v44, v46, v44
	v_fma_f32 v46, v85, s13, -v188
	v_mul_f32_e32 v164, 0x3f29c268, v86
	v_add_f32_e32 v96, v100, v96
	v_sub_f32_e32 v100, v108, v158
	v_add_f32_e32 v44, v46, v44
	v_fma_f32 v46, v87, s15, -v189
	v_mul_f32_e32 v170, 0x3f7e222b, v88
	v_add_f32_e32 v96, v100, v96
	v_sub_f32_e32 v100, v116, v164
	v_add_f32_e32 v44, v46, v44
	v_fma_f32 v46, v90, s14, -v190
	v_fmac_f32_e32 v191, 0xbf29c268, v80
	v_mul_f32_e32 v145, 0x3f116cb1, v79
	v_mul_f32_e32 v176, 0x3eedf032, v92
	v_add_f32_e32 v96, v100, v96
	v_sub_f32_e32 v100, v124, v170
	v_add_f32_e32 v44, v46, v44
	v_add_f32_e32 v46, v41, v191
	v_fmac_f32_e32 v192, 0x3f7e222b, v82
	v_mul_f32_e32 v151, 0xbeb58ec6, v81
	v_add_f32_e32 v96, v100, v96
	v_sub_f32_e32 v100, v130, v176
	v_add_f32_e32 v94, v145, v94
	v_add_f32_e32 v46, v192, v46
	v_fmac_f32_e32 v193, 0xbf52af12, v84
	v_mul_f32_e32 v157, 0xbf788fa5, v83
	v_add_f32_e32 v101, v100, v96
	v_add_f32_e32 v94, v40, v94
	;; [unrolled: 1-line block ×4, first 2 shown]
	v_fmac_f32_e32 v194, 0x3e750f2a, v86
	v_mul_f32_e32 v163, 0xbf3f9e67, v85
	v_add_f32_e32 v94, v96, v94
	v_add_f32_e32 v96, v157, v104
	;; [unrolled: 1-line block ×3, first 2 shown]
	v_fmac_f32_e32 v195, 0x3eedf032, v88
	v_mul_f32_e32 v169, 0x3df6dbef, v87
	v_add_f32_e32 v94, v96, v94
	v_add_f32_e32 v96, v163, v112
	;; [unrolled: 1-line block ×3, first 2 shown]
	v_fmac_f32_e32 v196, 0xbf6f5d39, v92
	v_mul_f32_e32 v144, 0xbeedf032, v80
	v_mul_f32_e32 v175, 0x3f62ad3f, v90
	v_add_f32_e32 v94, v96, v94
	v_add_f32_e32 v96, v169, v120
	;; [unrolled: 1-line block ×4, first 2 shown]
	v_fma_f32 v46, v79, s17, -v197
	v_mul_f32_e32 v150, 0xbf52af12, v82
	v_add_f32_e32 v94, v96, v94
	v_add_f32_e32 v96, v175, v128
	v_sub_f32_e32 v91, v91, v144
	v_add_f32_e32 v42, v48, v42
	v_add_f32_e32 v46, v40, v46
	v_fma_f32 v48, v81, s14, -v198
	v_mul_f32_e32 v156, 0xbf7e222b, v84
	v_add_f32_e32 v100, v96, v94
	v_add_f32_e32 v91, v41, v91
	v_sub_f32_e32 v94, v95, v150
	v_add_f32_e32 v46, v48, v46
	v_fma_f32 v48, v83, s13, -v199
	v_mul_f32_e32 v162, 0xbf6f5d39, v86
	v_add_f32_e32 v91, v94, v91
	v_sub_f32_e32 v94, v99, v156
	v_add_f32_e32 v46, v48, v46
	v_fma_f32 v48, v85, s16, -v200
	v_mul_f32_e32 v168, 0xbf29c268, v88
	v_add_f32_e32 v91, v94, v91
	v_sub_f32_e32 v94, v106, v162
	v_add_f32_e32 v43, v49, v43
	v_add_f32_e32 v46, v48, v46
	v_fma_f32 v48, v87, s12, -v201
	v_mul_f32_e32 v143, 0x3f62ad3f, v79
	v_mul_f32_e32 v174, 0xbe750f2a, v92
	v_add_f32_e32 v91, v94, v91
	v_sub_f32_e32 v94, v114, v168
	v_add_f32_e32 v43, v51, v43
	v_add_f32_e32 v42, v50, v42
	;; [unrolled: 1-line block ×3, first 2 shown]
	v_fma_f32 v48, v90, s15, -v202
	v_mul_f32_e32 v149, 0x3f116cb1, v81
	v_add_f32_e32 v91, v94, v91
	v_sub_f32_e32 v94, v122, v174
	v_add_f32_e32 v89, v143, v89
	v_add_f32_e32 v43, v61, v43
	;; [unrolled: 1-line block ×4, first 2 shown]
	v_fma_f32 v48, v79, s15, -v105
	v_mul_f32_e32 v155, 0x3df6dbef, v83
	v_add_f32_e32 v94, v94, v91
	v_add_f32_e32 v89, v40, v89
	v_add_f32_e32 v91, v149, v93
	v_add_f32_e32 v43, v63, v43
	v_add_f32_e32 v42, v62, v42
	v_fmac_f32_e32 v203, 0xbf6f5d39, v80
	v_add_f32_e32 v40, v40, v48
	v_fma_f32 v48, v81, s17, -v113
	v_mul_f32_e32 v161, 0xbeb58ec6, v85
	v_add_f32_e32 v89, v91, v89
	v_add_f32_e32 v91, v155, v97
	v_add_f32_e32 v43, v57, v43
	v_add_f32_e32 v42, v56, v42
	v_add_f32_e32 v41, v41, v203
	v_fmac_f32_e32 v119, 0x3f29c268, v82
	v_add_f32_e32 v40, v48, v40
	;; [unrolled: 9-line block ×4, first 2 shown]
	v_fma_f32 v48, v87, s16, -v132
	v_add_f32_e32 v89, v91, v89
	v_add_f32_e32 v91, v173, v117
	;; [unrolled: 1-line block ×5, first 2 shown]
	v_fmac_f32_e32 v136, 0x3e750f2a, v88
	v_add_f32_e32 v40, v48, v40
	v_fma_f32 v48, v90, s13, -v135
	v_add_f32_e32 v93, v91, v89
	v_add_f32_e32 v43, v72, v43
	;; [unrolled: 1-line block ×4, first 2 shown]
	v_fmac_f32_e32 v138, 0x3f52af12, v92
	v_add_f32_e32 v40, v48, v40
	v_lshlrev_b32_e32 v48, 3, v77
	v_add_f32_e32 v41, v138, v41
	ds_write2_b64 v48, v[42:43], v[93:94] offset1:1
	ds_write2_b64 v48, v[100:101], v[110:111] offset0:2 offset1:3
	ds_write2_b64 v48, v[126:127], v[141:142] offset0:4 offset1:5
	;; [unrolled: 1-line block ×5, first 2 shown]
	ds_write_b64 v48, v[73:74] offset:96
.LBB0_17:
	s_or_b64 exec, exec, s[2:3]
	s_waitcnt lgkmcnt(0)
	s_barrier
	ds_read2_b64 v[40:43], v75 offset1:169
	v_add_u32_e32 v45, 0x800, v75
	ds_read2_b64 v[46:49], v45 offset0:82 offset1:251
	v_add_u32_e32 v44, 0x1400, v75
	ds_read2_b64 v[50:53], v44 offset0:36 offset1:205
	;; [unrolled: 2-line block ×3, first 2 shown]
	s_waitcnt lgkmcnt(3)
	v_mul_f32_e32 v62, v17, v43
	v_mul_f32_e32 v17, v17, v42
	v_add_u32_e32 v44, 0x2800, v75
	v_fmac_f32_e32 v62, v16, v42
	v_fma_f32 v42, v16, v43, -v17
	s_waitcnt lgkmcnt(2)
	v_mul_f32_e32 v16, v19, v47
	v_mul_f32_e32 v17, v19, v46
	ds_read2_b64 v[58:61], v44 offset0:72 offset1:241
	v_fmac_f32_e32 v16, v18, v46
	v_fma_f32 v17, v18, v47, -v17
	v_mul_f32_e32 v18, v9, v49
	v_mul_f32_e32 v9, v9, v48
	v_fmac_f32_e32 v18, v8, v48
	v_fma_f32 v8, v8, v49, -v9
	s_waitcnt lgkmcnt(2)
	v_mul_f32_e32 v9, v11, v51
	v_mul_f32_e32 v11, v11, v50
	v_fmac_f32_e32 v9, v10, v50
	v_fma_f32 v10, v10, v51, -v11
	v_mul_f32_e32 v11, v5, v53
	v_mul_f32_e32 v5, v5, v52
	v_fmac_f32_e32 v11, v4, v52
	v_fma_f32 v4, v4, v53, -v5
	s_waitcnt lgkmcnt(1)
	v_mul_f32_e32 v5, v7, v55
	v_mul_f32_e32 v7, v7, v54
	;; [unrolled: 9-line block ×3, first 2 shown]
	v_add_f32_e32 v46, v9, v5
	v_fmac_f32_e32 v1, v2, v58
	v_fma_f32 v2, v2, v59, -v3
	v_fma_f32 v46, -0.5, v46, v40
	v_sub_f32_e32 v47, v17, v2
	v_mov_b32_e32 v48, v46
	v_fmac_f32_e32 v48, 0xbf737871, v47
	v_sub_f32_e32 v49, v10, v6
	v_sub_f32_e32 v50, v16, v9
	;; [unrolled: 1-line block ×3, first 2 shown]
	v_fmac_f32_e32 v46, 0x3f737871, v47
	v_fmac_f32_e32 v48, 0xbf167918, v49
	v_add_f32_e32 v50, v50, v51
	v_fmac_f32_e32 v46, 0x3f167918, v49
	v_fmac_f32_e32 v48, 0x3e9e377a, v50
	;; [unrolled: 1-line block ×3, first 2 shown]
	v_add_f32_e32 v50, v16, v1
	v_add_f32_e32 v43, v40, v16
	v_fma_f32 v40, -0.5, v50, v40
	v_mov_b32_e32 v50, v40
	v_add_f32_e32 v43, v43, v9
	v_fmac_f32_e32 v50, 0x3f737871, v49
	v_sub_f32_e32 v51, v9, v16
	v_sub_f32_e32 v52, v5, v1
	v_fmac_f32_e32 v40, 0xbf737871, v49
	v_add_f32_e32 v49, v10, v6
	v_add_f32_e32 v43, v43, v5
	v_fmac_f32_e32 v50, 0xbf167918, v47
	v_add_f32_e32 v51, v51, v52
	v_fmac_f32_e32 v40, 0x3f167918, v47
	v_fma_f32 v49, -0.5, v49, v41
	v_add_f32_e32 v43, v43, v1
	v_fmac_f32_e32 v50, 0x3e9e377a, v51
	v_fmac_f32_e32 v40, 0x3e9e377a, v51
	v_sub_f32_e32 v1, v16, v1
	v_mov_b32_e32 v51, v49
	v_fmac_f32_e32 v51, 0x3f737871, v1
	v_sub_f32_e32 v5, v9, v5
	v_sub_f32_e32 v9, v17, v10
	;; [unrolled: 1-line block ×3, first 2 shown]
	v_fmac_f32_e32 v49, 0xbf737871, v1
	v_fmac_f32_e32 v51, 0x3f167918, v5
	v_add_f32_e32 v9, v9, v16
	v_fmac_f32_e32 v49, 0xbf167918, v5
	v_fmac_f32_e32 v51, 0x3e9e377a, v9
	;; [unrolled: 1-line block ×3, first 2 shown]
	v_add_f32_e32 v9, v17, v2
	v_add_f32_e32 v47, v41, v17
	v_fma_f32 v41, -0.5, v9, v41
	v_mov_b32_e32 v52, v41
	v_fmac_f32_e32 v52, 0xbf737871, v5
	v_fmac_f32_e32 v41, 0x3f737871, v5
	;; [unrolled: 1-line block ×4, first 2 shown]
	v_add_f32_e32 v1, v62, v18
	v_mul_f32_e32 v3, v70, v61
	v_add_f32_e32 v47, v47, v10
	v_add_f32_e32 v1, v1, v11
	v_fmac_f32_e32 v3, v69, v60
	v_add_f32_e32 v47, v47, v6
	v_add_f32_e32 v1, v1, v7
	v_mul_f32_e32 v19, v70, v60
	v_add_f32_e32 v47, v47, v2
	v_sub_f32_e32 v2, v6, v2
	v_add_f32_e32 v6, v1, v3
	v_add_f32_e32 v1, v11, v7
	v_fma_f32 v19, v69, v61, -v19
	v_sub_f32_e32 v9, v10, v17
	v_fma_f32 v5, -0.5, v1, v62
	v_add_f32_e32 v2, v9, v2
	v_sub_f32_e32 v1, v8, v19
	v_mov_b32_e32 v9, v5
	v_fmac_f32_e32 v52, 0x3e9e377a, v2
	v_fmac_f32_e32 v41, 0x3e9e377a, v2
	;; [unrolled: 1-line block ×3, first 2 shown]
	v_sub_f32_e32 v2, v4, v0
	v_sub_f32_e32 v10, v18, v11
	;; [unrolled: 1-line block ×3, first 2 shown]
	v_fmac_f32_e32 v5, 0x3f737871, v1
	v_fmac_f32_e32 v9, 0xbf167918, v2
	v_add_f32_e32 v10, v10, v16
	v_fmac_f32_e32 v5, 0x3f167918, v2
	v_fmac_f32_e32 v9, 0x3e9e377a, v10
	;; [unrolled: 1-line block ×3, first 2 shown]
	v_add_f32_e32 v10, v18, v3
	v_fmac_f32_e32 v62, -0.5, v10
	v_mov_b32_e32 v10, v62
	v_fmac_f32_e32 v10, 0x3f737871, v2
	v_fmac_f32_e32 v62, 0xbf737871, v2
	;; [unrolled: 1-line block ×4, first 2 shown]
	v_add_f32_e32 v1, v42, v8
	v_add_f32_e32 v1, v1, v4
	;; [unrolled: 1-line block ×5, first 2 shown]
	v_fma_f32 v54, -0.5, v1, v42
	v_sub_f32_e32 v17, v7, v3
	v_sub_f32_e32 v1, v18, v3
	v_mov_b32_e32 v3, v54
	v_sub_f32_e32 v16, v11, v18
	v_fmac_f32_e32 v3, 0x3f737871, v1
	v_sub_f32_e32 v2, v11, v7
	v_sub_f32_e32 v7, v8, v4
	;; [unrolled: 1-line block ×3, first 2 shown]
	v_fmac_f32_e32 v54, 0xbf737871, v1
	v_fmac_f32_e32 v3, 0x3f167918, v2
	v_add_f32_e32 v7, v7, v11
	v_fmac_f32_e32 v54, 0xbf167918, v2
	v_fmac_f32_e32 v3, 0x3e9e377a, v7
	;; [unrolled: 1-line block ×3, first 2 shown]
	v_add_f32_e32 v7, v8, v19
	v_fmac_f32_e32 v42, -0.5, v7
	v_mov_b32_e32 v7, v42
	v_fmac_f32_e32 v7, 0xbf737871, v2
	v_sub_f32_e32 v4, v4, v8
	v_sub_f32_e32 v0, v0, v19
	v_fmac_f32_e32 v42, 0x3f737871, v2
	v_fmac_f32_e32 v7, 0x3f167918, v1
	v_add_f32_e32 v0, v4, v0
	v_fmac_f32_e32 v42, 0xbf167918, v1
	v_add_f32_e32 v16, v16, v17
	v_fmac_f32_e32 v7, 0x3e9e377a, v0
	v_fmac_f32_e32 v42, 0x3e9e377a, v0
	;; [unrolled: 1-line block ×4, first 2 shown]
	v_mul_f32_e32 v8, 0xbf167918, v3
	v_mul_f32_e32 v11, 0xbf737871, v7
	;; [unrolled: 1-line block ×8, first 2 shown]
	v_fmac_f32_e32 v8, 0x3f4f1bbd, v9
	v_fmac_f32_e32 v11, 0x3e9e377a, v10
	;; [unrolled: 1-line block ×8, first 2 shown]
	v_add_f32_e32 v0, v43, v6
	v_add_f32_e32 v2, v48, v8
	;; [unrolled: 1-line block ×10, first 2 shown]
	v_sub_f32_e32 v6, v43, v6
	v_sub_f32_e32 v8, v48, v8
	;; [unrolled: 1-line block ×10, first 2 shown]
	s_barrier
	ds_write2_b64 v78, v[0:1], v[2:3] offset1:13
	ds_write2_b64 v78, v[16:17], v[18:19] offset0:26 offset1:39
	ds_write2_b64 v78, v[4:5], v[6:7] offset0:52 offset1:65
	;; [unrolled: 1-line block ×4, first 2 shown]
	s_waitcnt lgkmcnt(0)
	s_barrier
	s_and_saveexec_b64 s[2:3], s[0:1]
	s_cbranch_execz .LBB0_19
; %bb.18:
	v_add_u32_e32 v4, 0x1000, v75
	v_add_u32_e32 v8, 0x1800, v75
	;; [unrolled: 1-line block ×3, first 2 shown]
	ds_read2_b64 v[0:3], v75 offset1:130
	ds_read2_b64 v[16:19], v45 offset0:4 offset1:134
	ds_read2_b64 v[4:7], v4 offset0:8 offset1:138
	ds_read2_b64 v[8:11], v8 offset0:12 offset1:142
	ds_read2_b64 v[40:43], v40 offset0:16 offset1:146
	ds_read2_b64 v[64:67], v44 offset0:20 offset1:150
	ds_read_b64 v[73:74], v75 offset:12480
.LBB0_19:
	s_or_b64 exec, exec, s[2:3]
	s_and_saveexec_b64 s[2:3], s[0:1]
	s_cbranch_execz .LBB0_21
; %bb.20:
	s_waitcnt lgkmcnt(0)
	v_mul_f32_e32 v44, v39, v73
	v_mul_f32_e32 v45, v29, v2
	v_fma_f32 v44, v38, v74, -v44
	v_fma_f32 v45, v28, v3, -v45
	v_mul_f32_e32 v29, v29, v3
	v_add_f32_e32 v46, v44, v45
	v_fmac_f32_e32 v29, v28, v2
	v_mul_f32_e32 v28, v39, v74
	v_mul_f32_e32 v47, 0xbf788fa5, v46
	v_fmac_f32_e32 v28, v38, v73
	v_sub_f32_e32 v2, v29, v28
	v_mov_b32_e32 v3, v47
	v_fmac_f32_e32 v3, 0x3e750f2a, v2
	v_add_f32_e32 v38, v1, v3
	v_mul_f32_e32 v3, v37, v66
	v_fma_f32 v39, v36, v67, -v3
	v_mul_f32_e32 v3, v31, v16
	v_fma_f32 v48, v30, v17, -v3
	v_mul_f32_e32 v31, v31, v17
	v_add_f32_e32 v49, v39, v48
	v_fmac_f32_e32 v31, v30, v16
	v_mul_f32_e32 v16, v37, v67
	v_mul_f32_e32 v50, 0x3f62ad3f, v49
	v_fmac_f32_e32 v16, v36, v66
	v_mul_f32_e32 v30, v35, v64
	v_mul_f32_e32 v36, v25, v18
	v_sub_f32_e32 v3, v31, v16
	v_mov_b32_e32 v17, v50
	v_fma_f32 v30, v34, v65, -v30
	v_fma_f32 v36, v24, v19, -v36
	v_mul_f32_e32 v19, v25, v19
	v_fmac_f32_e32 v17, 0xbeedf032, v3
	v_add_f32_e32 v37, v30, v36
	v_fmac_f32_e32 v19, v24, v18
	v_mul_f32_e32 v18, v35, v65
	v_add_f32_e32 v17, v17, v38
	v_mul_f32_e32 v38, 0xbf3f9e67, v37
	v_fmac_f32_e32 v18, v34, v64
	v_sub_f32_e32 v34, v19, v18
	v_mov_b32_e32 v24, v38
	v_fmac_f32_e32 v24, 0x3f29c268, v34
	v_add_f32_e32 v17, v24, v17
	v_mul_f32_e32 v24, v33, v42
	v_mul_f32_e32 v25, v27, v4
	v_fma_f32 v24, v32, v43, -v24
	v_fma_f32 v25, v26, v5, -v25
	v_mul_f32_e32 v27, v27, v5
	v_add_f32_e32 v35, v24, v25
	v_fmac_f32_e32 v27, v26, v4
	v_mul_f32_e32 v26, v33, v43
	v_mul_f32_e32 v51, 0x3f116cb1, v35
	v_fmac_f32_e32 v26, v32, v42
	v_sub_f32_e32 v32, v27, v26
	v_mov_b32_e32 v4, v51
	v_fmac_f32_e32 v4, 0xbf52af12, v32
	v_mul_f32_e32 v5, v15, v40
	v_add_f32_e32 v4, v4, v17
	v_fma_f32 v17, v14, v41, -v5
	v_mul_f32_e32 v5, v21, v6
	v_fma_f32 v33, v20, v7, -v5
	v_mul_f32_e32 v21, v21, v7
	v_add_f32_e32 v42, v17, v33
	v_fmac_f32_e32 v21, v20, v6
	v_mul_f32_e32 v20, v15, v41
	v_mul_f32_e32 v43, 0xbeb58ec6, v42
	v_fmac_f32_e32 v20, v14, v40
	v_sub_f32_e32 v40, v21, v20
	v_mov_b32_e32 v5, v43
	v_fmac_f32_e32 v5, 0x3f6f5d39, v40
	v_add_f32_e32 v4, v5, v4
	v_mul_f32_e32 v5, v13, v10
	v_fma_f32 v41, v12, v11, -v5
	v_mul_f32_e32 v5, v23, v8
	v_fma_f32 v52, v22, v9, -v5
	v_mul_f32_e32 v23, v23, v9
	v_add_f32_e32 v14, v41, v52
	v_fmac_f32_e32 v23, v22, v8
	v_mul_f32_e32 v22, v13, v11
	v_mul_f32_e32 v53, 0x3df6dbef, v14
	v_fmac_f32_e32 v22, v12, v10
	v_sub_f32_e32 v54, v23, v22
	v_mov_b32_e32 v5, v53
	v_sub_f32_e32 v56, v45, v44
	v_fmac_f32_e32 v5, 0xbf7e222b, v54
	v_mul_f32_e32 v57, 0xbe750f2a, v56
	v_sub_f32_e32 v59, v48, v39
	v_add_f32_e32 v5, v5, v4
	v_add_f32_e32 v55, v28, v29
	v_mov_b32_e32 v4, v57
	v_mul_f32_e32 v60, 0x3eedf032, v59
	v_fmac_f32_e32 v4, 0xbf788fa5, v55
	v_add_f32_e32 v58, v16, v31
	v_mov_b32_e32 v6, v60
	v_sub_f32_e32 v62, v36, v30
	v_add_f32_e32 v4, v0, v4
	v_fmac_f32_e32 v6, 0x3f62ad3f, v58
	v_mul_f32_e32 v63, 0xbf29c268, v62
	v_add_f32_e32 v4, v6, v4
	v_add_f32_e32 v61, v18, v19
	v_mov_b32_e32 v6, v63
	v_sub_f32_e32 v65, v25, v24
	v_fmac_f32_e32 v6, 0xbf3f9e67, v61
	v_mul_f32_e32 v66, 0x3f52af12, v65
	v_add_f32_e32 v4, v6, v4
	v_add_f32_e32 v64, v26, v27
	v_mov_b32_e32 v6, v66
	v_sub_f32_e32 v69, v33, v17
	;; [unrolled: 6-line block ×3, first 2 shown]
	v_fmac_f32_e32 v6, 0xbeb58ec6, v67
	v_mul_f32_e32 v73, 0x3f7e222b, v72
	v_add_f32_e32 v4, v6, v4
	v_add_f32_e32 v71, v22, v23
	v_mov_b32_e32 v6, v73
	v_fmac_f32_e32 v6, 0x3df6dbef, v71
	v_mul_f32_e32 v74, 0xbf3f9e67, v46
	v_add_f32_e32 v4, v6, v4
	v_mov_b32_e32 v6, v74
	v_mul_f32_e32 v77, 0x3df6dbef, v49
	v_fmac_f32_e32 v6, 0x3f29c268, v2
	v_mov_b32_e32 v7, v77
	v_add_f32_e32 v6, v1, v6
	v_fmac_f32_e32 v7, 0xbf7e222b, v3
	v_mul_f32_e32 v78, 0x3f116cb1, v37
	v_add_f32_e32 v6, v7, v6
	v_mov_b32_e32 v7, v78
	v_fmac_f32_e32 v7, 0x3f52af12, v34
	v_mul_f32_e32 v79, 0xbf788fa5, v35
	v_add_f32_e32 v6, v7, v6
	v_mov_b32_e32 v7, v79
	v_fmac_f32_e32 v7, 0xbe750f2a, v32
	v_mul_f32_e32 v80, 0x3f62ad3f, v42
	v_add_f32_e32 v6, v7, v6
	v_mov_b32_e32 v7, v80
	v_fmac_f32_e32 v7, 0xbeedf032, v40
	v_mul_f32_e32 v81, 0xbeb58ec6, v14
	v_add_f32_e32 v6, v7, v6
	v_mov_b32_e32 v7, v81
	v_fmac_f32_e32 v7, 0x3f6f5d39, v54
	v_mul_f32_e32 v82, 0xbf29c268, v56
	v_add_f32_e32 v7, v7, v6
	v_mov_b32_e32 v6, v82
	v_mul_f32_e32 v83, 0x3f7e222b, v59
	v_fmac_f32_e32 v6, 0xbf3f9e67, v55
	v_mov_b32_e32 v8, v83
	v_add_f32_e32 v6, v0, v6
	v_fmac_f32_e32 v8, 0x3df6dbef, v58
	v_mul_f32_e32 v84, 0xbf52af12, v62
	v_add_f32_e32 v6, v8, v6
	v_mov_b32_e32 v8, v84
	v_fmac_f32_e32 v8, 0x3f116cb1, v61
	v_mul_f32_e32 v85, 0x3e750f2a, v65
	v_add_f32_e32 v6, v8, v6
	v_mov_b32_e32 v8, v85
	v_fmac_f32_e32 v8, 0xbf788fa5, v64
	v_mul_f32_e32 v86, 0x3eedf032, v69
	v_add_f32_e32 v6, v8, v6
	v_mov_b32_e32 v8, v86
	v_fmac_f32_e32 v8, 0x3f62ad3f, v67
	v_mul_f32_e32 v87, 0xbf6f5d39, v72
	;; [unrolled: 24-line block ×3, first 2 shown]
	v_add_f32_e32 v8, v9, v8
	v_mov_b32_e32 v9, v93
	v_fmac_f32_e32 v9, 0xbf52af12, v54
	v_mul_f32_e32 v94, 0xbf6f5d39, v56
	v_add_f32_e32 v9, v9, v8
	v_mov_b32_e32 v8, v94
	v_mul_f32_e32 v95, 0x3f29c268, v59
	v_fmac_f32_e32 v8, 0xbeb58ec6, v55
	v_mov_b32_e32 v10, v95
	v_add_f32_e32 v45, v45, v1
	v_add_f32_e32 v8, v0, v8
	v_fmac_f32_e32 v10, 0xbf3f9e67, v58
	v_mul_f32_e32 v96, 0x3eedf032, v62
	v_add_f32_e32 v45, v48, v45
	v_add_f32_e32 v8, v10, v8
	v_mov_b32_e32 v10, v96
	v_add_f32_e32 v36, v36, v45
	v_fmac_f32_e32 v10, 0x3f62ad3f, v61
	v_mul_f32_e32 v97, 0xbf7e222b, v65
	v_add_f32_e32 v25, v25, v36
	v_add_f32_e32 v8, v10, v8
	v_mov_b32_e32 v10, v97
	;; [unrolled: 6-line block ×4, first 2 shown]
	v_add_f32_e32 v17, v24, v17
	v_add_f32_e32 v24, v0, v29
	v_fmac_f32_e32 v10, 0x3f116cb1, v71
	v_mul_f32_e32 v100, 0x3df6dbef, v46
	v_add_f32_e32 v24, v31, v24
	v_add_f32_e32 v8, v10, v8
	v_mov_b32_e32 v10, v100
	v_mul_f32_e32 v101, 0xbf788fa5, v49
	v_add_f32_e32 v19, v19, v24
	v_fmac_f32_e32 v10, 0x3f7e222b, v2
	v_mov_b32_e32 v11, v101
	v_add_f32_e32 v19, v27, v19
	v_add_f32_e32 v10, v1, v10
	v_fmac_f32_e32 v11, 0x3e750f2a, v3
	v_mul_f32_e32 v102, 0xbeb58ec6, v37
	v_add_f32_e32 v19, v21, v19
	v_add_f32_e32 v10, v11, v10
	v_mov_b32_e32 v11, v102
	v_add_f32_e32 v19, v23, v19
	v_fmac_f32_e32 v11, 0xbf6f5d39, v34
	v_mul_f32_e32 v103, 0x3f62ad3f, v35
	v_add_f32_e32 v19, v22, v19
	v_add_f32_e32 v10, v11, v10
	v_mov_b32_e32 v11, v103
	;; [unrolled: 6-line block ×3, first 2 shown]
	v_add_f32_e32 v18, v18, v19
	v_fmac_f32_e32 v47, 0xbe750f2a, v2
	v_fmac_f32_e32 v11, 0x3f52af12, v40
	v_mul_f32_e32 v105, 0xbf3f9e67, v14
	v_add_f32_e32 v16, v16, v18
	v_add_f32_e32 v18, v1, v47
	v_fmac_f32_e32 v50, 0x3eedf032, v3
	v_add_f32_e32 v10, v11, v10
	v_mov_b32_e32 v11, v105
	v_add_f32_e32 v18, v50, v18
	v_fmac_f32_e32 v38, 0xbf29c268, v34
	v_fmac_f32_e32 v11, 0x3f29c268, v54
	v_mul_f32_e32 v106, 0xbf7e222b, v56
	v_add_f32_e32 v18, v38, v18
	v_fmac_f32_e32 v51, 0x3f52af12, v32
	v_add_f32_e32 v11, v11, v10
	v_mov_b32_e32 v10, v106
	v_mul_f32_e32 v107, 0xbe750f2a, v59
	v_add_f32_e32 v18, v51, v18
	v_fmac_f32_e32 v43, 0xbf6f5d39, v40
	s_mov_b32 s12, 0xbf788fa5
	v_fmac_f32_e32 v10, 0x3df6dbef, v55
	v_mov_b32_e32 v12, v107
	v_add_f32_e32 v18, v43, v18
	v_fmac_f32_e32 v53, 0x3f7e222b, v54
	s_mov_b32 s13, 0x3f62ad3f
	v_add_f32_e32 v10, v0, v10
	v_fmac_f32_e32 v12, 0xbf788fa5, v58
	v_mul_f32_e32 v108, 0x3f6f5d39, v62
	v_add_f32_e32 v19, v53, v18
	v_fma_f32 v18, v55, s12, -v57
	s_mov_b32 s14, 0xbf3f9e67
	v_add_f32_e32 v10, v12, v10
	v_mov_b32_e32 v12, v108
	v_add_f32_e32 v18, v0, v18
	v_fma_f32 v20, v58, s13, -v60
	s_mov_b32 s15, 0x3f116cb1
	v_fmac_f32_e32 v12, 0xbeb58ec6, v61
	v_mul_f32_e32 v109, 0x3eedf032, v65
	v_add_f32_e32 v18, v20, v18
	v_fma_f32 v20, v61, s14, -v63
	s_mov_b32 s16, 0xbeb58ec6
	v_add_f32_e32 v10, v12, v10
	v_mov_b32_e32 v12, v109
	v_add_f32_e32 v18, v20, v18
	v_fma_f32 v20, v64, s15, -v66
	s_mov_b32 s17, 0x3df6dbef
	v_fmac_f32_e32 v12, 0x3f62ad3f, v64
	v_mul_f32_e32 v110, 0xbf52af12, v69
	v_add_f32_e32 v18, v20, v18
	v_fma_f32 v20, v67, s16, -v70
	v_add_f32_e32 v10, v12, v10
	v_mov_b32_e32 v12, v110
	v_add_f32_e32 v18, v20, v18
	v_fma_f32 v20, v71, s17, -v73
	v_fmac_f32_e32 v74, 0xbf29c268, v2
	v_fmac_f32_e32 v12, 0x3f116cb1, v67
	v_mul_f32_e32 v111, 0xbf29c268, v72
	v_add_f32_e32 v18, v20, v18
	v_add_f32_e32 v20, v1, v74
	v_fmac_f32_e32 v77, 0x3f7e222b, v3
	v_add_f32_e32 v10, v12, v10
	v_mov_b32_e32 v12, v111
	v_add_f32_e32 v20, v77, v20
	v_fmac_f32_e32 v78, 0xbf52af12, v34
	v_fmac_f32_e32 v12, 0xbf3f9e67, v71
	v_mul_f32_e32 v112, 0x3f116cb1, v46
	v_add_f32_e32 v20, v78, v20
	v_fmac_f32_e32 v79, 0x3e750f2a, v32
	v_add_f32_e32 v10, v12, v10
	v_mov_b32_e32 v12, v112
	v_mul_f32_e32 v113, 0xbeb58ec6, v49
	v_add_f32_e32 v20, v79, v20
	v_fmac_f32_e32 v80, 0x3eedf032, v40
	v_fmac_f32_e32 v12, 0x3f52af12, v2
	v_mov_b32_e32 v13, v113
	v_add_f32_e32 v20, v80, v20
	v_fmac_f32_e32 v81, 0xbf6f5d39, v54
	v_add_f32_e32 v12, v1, v12
	v_fmac_f32_e32 v13, 0x3f6f5d39, v3
	v_mul_f32_e32 v114, 0xbf788fa5, v37
	v_add_f32_e32 v21, v81, v20
	v_fma_f32 v20, v55, s14, -v82
	v_add_f32_e32 v12, v13, v12
	v_mov_b32_e32 v13, v114
	v_add_f32_e32 v20, v0, v20
	v_fma_f32 v22, v58, s17, -v83
	v_fmac_f32_e32 v13, 0x3e750f2a, v34
	v_mul_f32_e32 v115, 0xbf3f9e67, v35
	v_add_f32_e32 v20, v22, v20
	v_fma_f32 v22, v61, s15, -v84
	v_add_f32_e32 v12, v13, v12
	v_mov_b32_e32 v13, v115
	v_add_f32_e32 v20, v22, v20
	v_fma_f32 v22, v64, s12, -v85
	v_fmac_f32_e32 v13, 0xbf29c268, v32
	v_mul_f32_e32 v116, 0x3df6dbef, v42
	v_add_f32_e32 v20, v22, v20
	v_fma_f32 v22, v67, s13, -v86
	v_add_f32_e32 v12, v13, v12
	v_mov_b32_e32 v13, v116
	v_add_f32_e32 v20, v22, v20
	v_fma_f32 v22, v71, s16, -v87
	v_fmac_f32_e32 v88, 0xbf6f5d39, v2
	v_fmac_f32_e32 v13, 0xbf7e222b, v40
	v_mul_f32_e32 v117, 0x3f62ad3f, v14
	v_add_f32_e32 v20, v22, v20
	v_add_f32_e32 v22, v1, v88
	v_fmac_f32_e32 v89, 0x3f29c268, v3
	v_add_f32_e32 v12, v13, v12
	v_mov_b32_e32 v13, v117
	v_add_f32_e32 v22, v89, v22
	v_fmac_f32_e32 v90, 0x3eedf032, v34
	v_fmac_f32_e32 v13, 0xbeedf032, v54
	v_mul_f32_e32 v118, 0xbf52af12, v56
	v_add_f32_e32 v22, v90, v22
	v_fmac_f32_e32 v91, 0xbf7e222b, v32
	v_add_f32_e32 v13, v13, v12
	v_mov_b32_e32 v12, v118
	v_mul_f32_e32 v119, 0xbf6f5d39, v59
	v_add_f32_e32 v22, v91, v22
	v_fmac_f32_e32 v92, 0x3e750f2a, v40
	v_fmac_f32_e32 v12, 0x3f116cb1, v55
	v_mov_b32_e32 v15, v119
	v_add_f32_e32 v22, v92, v22
	v_fmac_f32_e32 v93, 0x3f52af12, v54
	v_add_f32_e32 v12, v0, v12
	v_fmac_f32_e32 v15, 0xbeb58ec6, v58
	v_mul_f32_e32 v120, 0xbe750f2a, v62
	v_add_f32_e32 v23, v93, v22
	v_fma_f32 v22, v55, s16, -v94
	v_add_f32_e32 v12, v15, v12
	v_mov_b32_e32 v15, v120
	v_add_f32_e32 v22, v0, v22
	v_fma_f32 v24, v58, s14, -v95
	v_fmac_f32_e32 v15, 0xbf788fa5, v61
	v_mul_f32_e32 v121, 0x3f29c268, v65
	v_add_f32_e32 v22, v24, v22
	v_fma_f32 v24, v61, s13, -v96
	v_add_f32_e32 v12, v15, v12
	v_mov_b32_e32 v15, v121
	v_add_f32_e32 v22, v24, v22
	v_fma_f32 v24, v64, s17, -v97
	;; [unrolled: 48-line block ×3, first 2 shown]
	v_fmac_f32_e32 v124, 0x3f6f5d39, v32
	v_mul_f32_e32 v42, 0xbf3f9e67, v42
	v_add_f32_e32 v24, v26, v24
	v_fma_f32 v26, v67, s15, -v110
	v_add_f32_e32 v15, v124, v15
	v_mov_b32_e32 v124, v42
	v_add_f32_e32 v24, v26, v24
	v_fma_f32 v26, v71, s14, -v111
	v_fmac_f32_e32 v112, 0xbf52af12, v2
	v_fmac_f32_e32 v124, 0x3f29c268, v40
	v_add_f32_e32 v24, v26, v24
	v_add_f32_e32 v26, v1, v112
	v_fmac_f32_e32 v113, 0xbf6f5d39, v3
	v_add_f32_e32 v15, v124, v15
	v_mul_f32_e32 v124, 0xbf788fa5, v14
	v_add_f32_e32 v26, v113, v26
	v_fmac_f32_e32 v114, 0xbe750f2a, v34
	v_mov_b32_e32 v14, v124
	v_add_f32_e32 v26, v114, v26
	v_fmac_f32_e32 v115, 0x3f29c268, v32
	v_fmac_f32_e32 v14, 0x3e750f2a, v54
	v_mul_f32_e32 v56, 0xbeedf032, v56
	v_add_f32_e32 v26, v115, v26
	v_fmac_f32_e32 v116, 0x3f7e222b, v40
	v_add_f32_e32 v15, v14, v15
	v_mov_b32_e32 v14, v56
	v_mul_f32_e32 v59, 0xbf52af12, v59
	v_add_f32_e32 v26, v116, v26
	v_fmac_f32_e32 v117, 0x3eedf032, v54
	v_fmac_f32_e32 v14, 0x3f62ad3f, v55
	v_mov_b32_e32 v125, v59
	v_add_f32_e32 v27, v117, v26
	v_fma_f32 v26, v55, s15, -v118
	v_fmac_f32_e32 v46, 0xbeedf032, v2
	v_fma_f32 v2, v55, s13, -v56
	v_add_f32_e32 v14, v0, v14
	v_fmac_f32_e32 v125, 0x3f116cb1, v58
	v_mul_f32_e32 v62, 0xbf7e222b, v62
	v_add_f32_e32 v26, v0, v26
	v_add_f32_e32 v0, v0, v2
	v_fma_f32 v2, v58, s15, -v59
	v_add_f32_e32 v14, v125, v14
	v_mov_b32_e32 v125, v62
	v_mul_f32_e32 v65, 0xbf6f5d39, v65
	v_add_f32_e32 v0, v2, v0
	v_fma_f32 v2, v61, s17, -v62
	v_fmac_f32_e32 v125, 0x3df6dbef, v61
	v_mul_f32_e32 v69, 0xbf29c268, v69
	v_add_f32_e32 v0, v2, v0
	v_fma_f32 v2, v64, s16, -v65
	v_add_f32_e32 v14, v125, v14
	v_mov_b32_e32 v125, v65
	v_mul_f32_e32 v72, 0xbe750f2a, v72
	v_add_f32_e32 v0, v2, v0
	v_fma_f32 v2, v67, s14, -v69
	v_fmac_f32_e32 v125, 0xbeb58ec6, v64
	v_add_f32_e32 v16, v28, v16
	v_fma_f32 v28, v58, s16, -v119
	v_add_f32_e32 v0, v2, v0
	v_fma_f32 v2, v71, s12, -v72
	v_add_f32_e32 v14, v125, v14
	v_mov_b32_e32 v125, v69
	v_add_f32_e32 v26, v28, v26
	v_fma_f32 v28, v61, s12, -v120
	v_add_f32_e32 v1, v1, v46
	v_fmac_f32_e32 v49, 0xbf52af12, v3
	v_add_f32_e32 v0, v2, v0
	v_add_u32_e32 v2, 0x800, v75
	v_fmac_f32_e32 v125, 0xbf3f9e67, v67
	v_add_f32_e32 v26, v28, v26
	v_fma_f32 v28, v64, s14, -v121
	v_add_f32_e32 v1, v49, v1
	v_fmac_f32_e32 v37, 0xbf7e222b, v34
	ds_write2_b64 v2, v[12:13], v[10:11] offset0:4 offset1:134
	v_add_u32_e32 v2, 0x1000, v75
	v_add_f32_e32 v14, v125, v14
	v_mov_b32_e32 v125, v72
	v_add_f32_e32 v17, v30, v17
	v_add_f32_e32 v26, v28, v26
	v_fma_f32 v28, v67, s17, -v122
	v_add_f32_e32 v1, v37, v1
	v_fmac_f32_e32 v35, 0xbf6f5d39, v32
	ds_write2_b64 v2, v[8:9], v[6:7] offset0:8 offset1:138
	v_add_u32_e32 v2, 0x1800, v75
	v_fmac_f32_e32 v125, 0xbf788fa5, v71
	v_add_f32_e32 v17, v39, v17
	v_add_f32_e32 v26, v28, v26
	v_fma_f32 v28, v71, s13, -v123
	v_add_f32_e32 v1, v35, v1
	v_fmac_f32_e32 v42, 0xbf29c268, v40
	ds_write2_b64 v2, v[4:5], v[18:19] offset0:12 offset1:142
	v_add_u32_e32 v2, 0x2000, v75
	v_add_f32_e32 v14, v125, v14
	v_add_f32_e32 v17, v44, v17
	;; [unrolled: 1-line block ×4, first 2 shown]
	v_fmac_f32_e32 v124, 0xbe750f2a, v54
	ds_write2_b64 v2, v[20:21], v[22:23] offset0:16 offset1:146
	v_add_u32_e32 v2, 0x2800, v75
	v_add_f32_e32 v1, v124, v1
	ds_write2_b64 v75, v[16:17], v[14:15] offset1:130
	ds_write2_b64 v2, v[24:25], v[26:27] offset0:20 offset1:150
	ds_write_b64 v75, v[0:1] offset:12480
.LBB0_21:
	s_or_b64 exec, exec, s[2:3]
	s_waitcnt lgkmcnt(0)
	s_barrier
	s_and_b64 exec, exec, s[0:1]
	s_cbranch_execz .LBB0_23
; %bb.22:
	global_load_dwordx2 v[8:9], v75, s[10:11]
	global_load_dwordx2 v[10:11], v75, s[10:11] offset:1040
	global_load_dwordx2 v[12:13], v75, s[10:11] offset:2080
	;; [unrolled: 1-line block ×3, first 2 shown]
	v_mov_b32_e32 v0, s11
	v_mad_u64_u32 v[20:21], s[2:3], s4, v76, 0
	v_add_co_u32_e32 v35, vcc, s10, v75
	v_mad_u64_u32 v[18:19], s[0:1], s6, v68, 0
	s_mul_hi_u32 s6, s4, 0x410
	s_mul_i32 s2, s4, 0x410
	s_movk_i32 s4, 0x1000
	v_addc_co_u32_e32 v36, vcc, 0, v0, vcc
	v_add_co_u32_e32 v22, vcc, s4, v35
	v_addc_co_u32_e32 v23, vcc, 0, v36, vcc
	global_load_dwordx2 v[24:25], v[22:23], off offset:64
	s_mul_i32 s3, s5, 0x410
	s_add_i32 s3, s6, s3
	v_mad_u64_u32 v[26:27], s[6:7], s7, v68, v[19:20]
	v_add_u32_e32 v1, 0x400, v75
	v_add_u32_e32 v4, 0xc00, v75
	v_mad_u64_u32 v[27:28], s[4:5], s5, v76, v[21:22]
	ds_read_b64 v[16:17], v75
	ds_read2_b64 v[0:3], v1 offset0:2 offset1:132
	ds_read2_b64 v[4:7], v4 offset0:6 offset1:136
	global_load_dwordx2 v[28:29], v[22:23], off offset:1104
	global_load_dwordx2 v[30:31], v[22:23], off offset:2144
	;; [unrolled: 1-line block ×3, first 2 shown]
	v_mov_b32_e32 v19, v26
	v_mov_b32_e32 v21, v27
	s_mov_b32 s0, 0x622898b1
	s_mov_b32 s1, 0x3f4363ac
	v_lshlrev_b64 v[18:19], 3, v[18:19]
	v_mov_b32_e32 v34, s9
	v_lshlrev_b64 v[20:21], 3, v[20:21]
	v_add_co_u32_e32 v18, vcc, s8, v18
	v_addc_co_u32_e32 v19, vcc, v34, v19, vcc
	v_add_co_u32_e32 v18, vcc, v18, v20
	v_addc_co_u32_e32 v19, vcc, v19, v21, vcc
	v_mov_b32_e32 v37, s3
	v_add_co_u32_e32 v20, vcc, s2, v18
	s_movk_i32 s9, 0x2000
	v_addc_co_u32_e32 v21, vcc, v19, v37, vcc
	v_mov_b32_e32 v38, s3
	s_movk_i32 s4, 0x3000
	s_waitcnt vmcnt(7) lgkmcnt(2)
	v_mul_f32_e32 v22, v17, v9
	v_mul_f32_e32 v9, v16, v9
	s_waitcnt vmcnt(6) lgkmcnt(1)
	v_mul_f32_e32 v23, v1, v11
	v_mul_f32_e32 v11, v0, v11
	s_waitcnt vmcnt(5)
	v_mul_f32_e32 v26, v3, v13
	v_mul_f32_e32 v13, v2, v13
	v_fmac_f32_e32 v22, v16, v8
	v_fma_f32 v8, v8, v17, -v9
	s_waitcnt vmcnt(4) lgkmcnt(0)
	v_mul_f32_e32 v27, v5, v15
	v_mul_f32_e32 v15, v4, v15
	v_fmac_f32_e32 v23, v0, v10
	v_fma_f32 v9, v10, v1, -v11
	v_fmac_f32_e32 v26, v2, v12
	v_fma_f32 v12, v12, v3, -v13
	v_cvt_f64_f32_e32 v[0:1], v22
	v_cvt_f64_f32_e32 v[2:3], v8
	v_fmac_f32_e32 v27, v4, v14
	v_fma_f32 v16, v14, v5, -v15
	v_cvt_f64_f32_e32 v[4:5], v23
	v_cvt_f64_f32_e32 v[8:9], v9
	v_mul_f64 v[0:1], v[0:1], s[0:1]
	v_mul_f64 v[2:3], v[2:3], s[0:1]
	v_cvt_f64_f32_e32 v[10:11], v26
	v_mul_f64 v[4:5], v[4:5], s[0:1]
	v_mul_f64 v[8:9], v[8:9], s[0:1]
	v_cvt_f64_f32_e32 v[12:13], v12
	v_mul_f64 v[10:11], v[10:11], s[0:1]
	v_cvt_f64_f32_e32 v[14:15], v27
	v_cvt_f32_f64_e32 v0, v[0:1]
	v_cvt_f32_f64_e32 v1, v[2:3]
	v_mul_f64 v[12:13], v[12:13], s[0:1]
	v_cvt_f32_f64_e32 v2, v[4:5]
	v_cvt_f32_f64_e32 v3, v[8:9]
	v_add_co_u32_e32 v8, vcc, s9, v35
	global_store_dwordx2 v[18:19], v[0:1], off
	global_store_dwordx2 v[20:21], v[2:3], off
	v_addc_co_u32_e32 v9, vcc, 0, v36, vcc
	v_cvt_f32_f64_e32 v4, v[10:11]
	global_load_dwordx2 v[10:11], v[8:9], off offset:128
	v_cvt_f64_f32_e32 v[16:17], v16
	v_mul_f64 v[14:15], v[14:15], s[0:1]
	s_waitcnt vmcnt(6)
	v_mul_f32_e32 v0, v7, v25
	v_fmac_f32_e32 v0, v6, v24
	v_mul_f64 v[16:17], v[16:17], s[0:1]
	v_cvt_f32_f64_e32 v5, v[12:13]
	v_cvt_f64_f32_e32 v[0:1], v0
	v_add_co_u32_e32 v12, vcc, s2, v20
	v_addc_co_u32_e32 v13, vcc, v21, v38, vcc
	global_store_dwordx2 v[12:13], v[4:5], off
	v_cvt_f32_f64_e32 v4, v[14:15]
	v_mul_f64 v[14:15], v[0:1], s[0:1]
	v_mul_f32_e32 v0, v6, v25
	v_fma_f32 v0, v24, v7, -v0
	global_load_dwordx2 v[6:7], v[8:9], off offset:1168
	v_cvt_f32_f64_e32 v5, v[16:17]
	v_cvt_f64_f32_e32 v[16:17], v0
	v_add_u32_e32 v0, 0x1400, v75
	ds_read2_b64 v[0:3], v0 offset0:10 offset1:140
	v_mov_b32_e32 v18, s3
	v_add_co_u32_e32 v12, vcc, s2, v12
	v_addc_co_u32_e32 v13, vcc, v13, v18, vcc
	global_store_dwordx2 v[12:13], v[4:5], off
	v_mul_f64 v[4:5], v[16:17], s[0:1]
	v_cvt_f32_f64_e32 v14, v[14:15]
	s_waitcnt vmcnt(8) lgkmcnt(0)
	v_mul_f32_e32 v15, v1, v29
	v_fmac_f32_e32 v15, v0, v28
	v_cvt_f64_f32_e32 v[16:17], v15
	v_mul_f32_e32 v0, v0, v29
	v_fma_f32 v0, v28, v1, -v0
	v_cvt_f64_f32_e32 v[0:1], v0
	v_cvt_f32_f64_e32 v15, v[4:5]
	v_mul_f64 v[4:5], v[16:17], s[0:1]
	global_load_dwordx2 v[16:17], v[8:9], off offset:2208
	v_mul_f64 v[0:1], v[0:1], s[0:1]
	global_load_dwordx2 v[8:9], v[8:9], off offset:3248
	v_add_co_u32_e32 v12, vcc, s2, v12
	v_addc_co_u32_e32 v13, vcc, v13, v18, vcc
	v_cvt_f32_f64_e32 v4, v[4:5]
	global_store_dwordx2 v[12:13], v[14:15], off
	v_cvt_f32_f64_e32 v5, v[0:1]
	s_waitcnt vmcnt(10)
	v_mul_f32_e32 v0, v3, v31
	v_fmac_f32_e32 v0, v2, v30
	v_cvt_f64_f32_e32 v[14:15], v0
	v_mul_f32_e32 v0, v2, v31
	v_fma_f32 v0, v30, v3, -v0
	v_cvt_f64_f32_e32 v[18:19], v0
	v_add_u32_e32 v0, 0x1c00, v75
	ds_read2_b64 v[0:3], v0 offset0:14 offset1:144
	v_mov_b32_e32 v20, s3
	v_add_co_u32_e32 v12, vcc, s2, v12
	v_addc_co_u32_e32 v13, vcc, v13, v20, vcc
	global_store_dwordx2 v[12:13], v[4:5], off
	v_mul_f64 v[4:5], v[14:15], s[0:1]
	v_mul_f64 v[14:15], v[18:19], s[0:1]
	s_waitcnt vmcnt(10) lgkmcnt(0)
	v_mul_f32_e32 v18, v1, v33
	v_fmac_f32_e32 v18, v0, v32
	v_mul_f32_e32 v0, v0, v33
	v_fma_f32 v0, v32, v1, -v0
	v_cvt_f64_f32_e32 v[0:1], v0
	v_cvt_f64_f32_e32 v[18:19], v18
	v_cvt_f32_f64_e32 v4, v[4:5]
	v_cvt_f32_f64_e32 v5, v[14:15]
	v_mul_f64 v[0:1], v[0:1], s[0:1]
	v_mul_f64 v[14:15], v[18:19], s[0:1]
	v_mov_b32_e32 v18, s3
	v_add_co_u32_e32 v12, vcc, s2, v12
	v_addc_co_u32_e32 v13, vcc, v13, v18, vcc
	global_store_dwordx2 v[12:13], v[4:5], off
	v_cvt_f32_f64_e32 v5, v[0:1]
	s_waitcnt vmcnt(8)
	v_mul_f32_e32 v0, v3, v11
	v_fmac_f32_e32 v0, v2, v10
	v_cvt_f32_f64_e32 v4, v[14:15]
	v_cvt_f64_f32_e32 v[14:15], v0
	v_mul_f32_e32 v0, v2, v11
	v_fma_f32 v0, v10, v3, -v0
	v_cvt_f64_f32_e32 v[10:11], v0
	v_add_u32_e32 v0, 0x2400, v75
	ds_read2_b64 v[0:3], v0 offset0:18 offset1:148
	v_add_co_u32_e32 v12, vcc, s2, v12
	v_addc_co_u32_e32 v13, vcc, v13, v18, vcc
	global_store_dwordx2 v[12:13], v[4:5], off
	v_mul_f64 v[4:5], v[14:15], s[0:1]
	v_mul_f64 v[10:11], v[10:11], s[0:1]
	s_waitcnt vmcnt(7) lgkmcnt(0)
	v_mul_f32_e32 v14, v1, v7
	v_fmac_f32_e32 v14, v0, v6
	v_mul_f32_e32 v0, v0, v7
	v_fma_f32 v0, v6, v1, -v0
	v_cvt_f64_f32_e32 v[0:1], v0
	v_cvt_f64_f32_e32 v[14:15], v14
	v_cvt_f32_f64_e32 v4, v[4:5]
	v_cvt_f32_f64_e32 v5, v[10:11]
	v_mul_f64 v[0:1], v[0:1], s[0:1]
	v_mul_f64 v[6:7], v[14:15], s[0:1]
	v_mov_b32_e32 v11, s3
	v_add_co_u32_e32 v10, vcc, s2, v12
	v_addc_co_u32_e32 v11, vcc, v13, v11, vcc
	global_store_dwordx2 v[10:11], v[4:5], off
	v_cvt_f32_f64_e32 v5, v[0:1]
	v_cvt_f32_f64_e32 v4, v[6:7]
	v_mov_b32_e32 v14, s3
	v_add_co_u32_e32 v10, vcc, s2, v10
	s_waitcnt vmcnt(6)
	v_mul_f32_e32 v0, v3, v17
	v_fmac_f32_e32 v0, v2, v16
	v_cvt_f64_f32_e32 v[6:7], v0
	v_mul_f32_e32 v0, v2, v17
	v_fma_f32 v0, v16, v3, -v0
	v_cvt_f64_f32_e32 v[12:13], v0
	v_add_u32_e32 v0, 0x2c00, v75
	ds_read2_b64 v[0:3], v0 offset0:22 offset1:152
	v_addc_co_u32_e32 v11, vcc, v11, v14, vcc
	global_store_dwordx2 v[10:11], v[4:5], off
	v_mul_f64 v[4:5], v[6:7], s[0:1]
	v_mul_f64 v[6:7], v[12:13], s[0:1]
	s_waitcnt vmcnt(6) lgkmcnt(0)
	v_mul_f32_e32 v12, v1, v9
	v_fmac_f32_e32 v12, v0, v8
	v_mul_f32_e32 v0, v0, v9
	v_fma_f32 v0, v8, v1, -v0
	v_cvt_f64_f32_e32 v[12:13], v12
	v_cvt_f64_f32_e32 v[0:1], v0
	v_cvt_f32_f64_e32 v4, v[4:5]
	v_cvt_f32_f64_e32 v5, v[6:7]
	v_mul_f64 v[6:7], v[12:13], s[0:1]
	v_mul_f64 v[0:1], v[0:1], s[0:1]
	v_mov_b32_e32 v9, s3
	v_add_co_u32_e32 v8, vcc, s2, v10
	v_addc_co_u32_e32 v9, vcc, v11, v9, vcc
	global_store_dwordx2 v[8:9], v[4:5], off
	v_cvt_f32_f64_e32 v4, v[6:7]
	v_cvt_f32_f64_e32 v5, v[0:1]
	v_mov_b32_e32 v1, s3
	v_add_co_u32_e32 v0, vcc, s2, v8
	v_addc_co_u32_e32 v1, vcc, v9, v1, vcc
	global_store_dwordx2 v[0:1], v[4:5], off
	v_add_co_u32_e32 v4, vcc, s4, v35
	v_addc_co_u32_e32 v5, vcc, 0, v36, vcc
	global_load_dwordx2 v[4:5], v[4:5], off offset:192
	v_add_co_u32_e32 v0, vcc, s2, v0
	s_waitcnt vmcnt(0)
	v_mul_f32_e32 v6, v3, v5
	v_fmac_f32_e32 v6, v2, v4
	v_mul_f32_e32 v2, v2, v5
	v_fma_f32 v2, v4, v3, -v2
	v_cvt_f64_f32_e32 v[6:7], v6
	v_cvt_f64_f32_e32 v[2:3], v2
	v_mul_f64 v[4:5], v[6:7], s[0:1]
	v_mul_f64 v[2:3], v[2:3], s[0:1]
	v_cvt_f32_f64_e32 v4, v[4:5]
	v_cvt_f32_f64_e32 v5, v[2:3]
	v_mov_b32_e32 v2, s3
	v_addc_co_u32_e32 v1, vcc, v1, v2, vcc
	global_store_dwordx2 v[0:1], v[4:5], off
.LBB0_23:
	s_endpgm
	.section	.rodata,"a",@progbits
	.p2align	6, 0x0
	.amdhsa_kernel bluestein_single_back_len1690_dim1_sp_op_CI_CI
		.amdhsa_group_segment_fixed_size 13520
		.amdhsa_private_segment_fixed_size 0
		.amdhsa_kernarg_size 104
		.amdhsa_user_sgpr_count 6
		.amdhsa_user_sgpr_private_segment_buffer 1
		.amdhsa_user_sgpr_dispatch_ptr 0
		.amdhsa_user_sgpr_queue_ptr 0
		.amdhsa_user_sgpr_kernarg_segment_ptr 1
		.amdhsa_user_sgpr_dispatch_id 0
		.amdhsa_user_sgpr_flat_scratch_init 0
		.amdhsa_user_sgpr_private_segment_size 0
		.amdhsa_uses_dynamic_stack 0
		.amdhsa_system_sgpr_private_segment_wavefront_offset 0
		.amdhsa_system_sgpr_workgroup_id_x 1
		.amdhsa_system_sgpr_workgroup_id_y 0
		.amdhsa_system_sgpr_workgroup_id_z 0
		.amdhsa_system_sgpr_workgroup_info 0
		.amdhsa_system_vgpr_workitem_id 0
		.amdhsa_next_free_vgpr 206
		.amdhsa_next_free_sgpr 18
		.amdhsa_reserve_vcc 1
		.amdhsa_reserve_flat_scratch 0
		.amdhsa_float_round_mode_32 0
		.amdhsa_float_round_mode_16_64 0
		.amdhsa_float_denorm_mode_32 3
		.amdhsa_float_denorm_mode_16_64 3
		.amdhsa_dx10_clamp 1
		.amdhsa_ieee_mode 1
		.amdhsa_fp16_overflow 0
		.amdhsa_exception_fp_ieee_invalid_op 0
		.amdhsa_exception_fp_denorm_src 0
		.amdhsa_exception_fp_ieee_div_zero 0
		.amdhsa_exception_fp_ieee_overflow 0
		.amdhsa_exception_fp_ieee_underflow 0
		.amdhsa_exception_fp_ieee_inexact 0
		.amdhsa_exception_int_div_zero 0
	.end_amdhsa_kernel
	.text
.Lfunc_end0:
	.size	bluestein_single_back_len1690_dim1_sp_op_CI_CI, .Lfunc_end0-bluestein_single_back_len1690_dim1_sp_op_CI_CI
                                        ; -- End function
	.section	.AMDGPU.csdata,"",@progbits
; Kernel info:
; codeLenInByte = 18336
; NumSgprs: 22
; NumVgprs: 206
; ScratchSize: 0
; MemoryBound: 0
; FloatMode: 240
; IeeeMode: 1
; LDSByteSize: 13520 bytes/workgroup (compile time only)
; SGPRBlocks: 2
; VGPRBlocks: 51
; NumSGPRsForWavesPerEU: 22
; NumVGPRsForWavesPerEU: 206
; Occupancy: 1
; WaveLimiterHint : 1
; COMPUTE_PGM_RSRC2:SCRATCH_EN: 0
; COMPUTE_PGM_RSRC2:USER_SGPR: 6
; COMPUTE_PGM_RSRC2:TRAP_HANDLER: 0
; COMPUTE_PGM_RSRC2:TGID_X_EN: 1
; COMPUTE_PGM_RSRC2:TGID_Y_EN: 0
; COMPUTE_PGM_RSRC2:TGID_Z_EN: 0
; COMPUTE_PGM_RSRC2:TIDIG_COMP_CNT: 0
	.type	__hip_cuid_d571cfa4bb055029,@object ; @__hip_cuid_d571cfa4bb055029
	.section	.bss,"aw",@nobits
	.globl	__hip_cuid_d571cfa4bb055029
__hip_cuid_d571cfa4bb055029:
	.byte	0                               ; 0x0
	.size	__hip_cuid_d571cfa4bb055029, 1

	.ident	"AMD clang version 19.0.0git (https://github.com/RadeonOpenCompute/llvm-project roc-6.4.0 25133 c7fe45cf4b819c5991fe208aaa96edf142730f1d)"
	.section	".note.GNU-stack","",@progbits
	.addrsig
	.addrsig_sym __hip_cuid_d571cfa4bb055029
	.amdgpu_metadata
---
amdhsa.kernels:
  - .args:
      - .actual_access:  read_only
        .address_space:  global
        .offset:         0
        .size:           8
        .value_kind:     global_buffer
      - .actual_access:  read_only
        .address_space:  global
        .offset:         8
        .size:           8
        .value_kind:     global_buffer
      - .actual_access:  read_only
        .address_space:  global
        .offset:         16
        .size:           8
        .value_kind:     global_buffer
      - .actual_access:  read_only
        .address_space:  global
        .offset:         24
        .size:           8
        .value_kind:     global_buffer
      - .actual_access:  read_only
        .address_space:  global
        .offset:         32
        .size:           8
        .value_kind:     global_buffer
      - .offset:         40
        .size:           8
        .value_kind:     by_value
      - .address_space:  global
        .offset:         48
        .size:           8
        .value_kind:     global_buffer
      - .address_space:  global
        .offset:         56
        .size:           8
        .value_kind:     global_buffer
      - .address_space:  global
        .offset:         64
        .size:           8
        .value_kind:     global_buffer
      - .address_space:  global
        .offset:         72
        .size:           8
        .value_kind:     global_buffer
      - .offset:         80
        .size:           4
        .value_kind:     by_value
      - .address_space:  global
        .offset:         88
        .size:           8
        .value_kind:     global_buffer
      - .address_space:  global
        .offset:         96
        .size:           8
        .value_kind:     global_buffer
    .group_segment_fixed_size: 13520
    .kernarg_segment_align: 8
    .kernarg_segment_size: 104
    .language:       OpenCL C
    .language_version:
      - 2
      - 0
    .max_flat_workgroup_size: 169
    .name:           bluestein_single_back_len1690_dim1_sp_op_CI_CI
    .private_segment_fixed_size: 0
    .sgpr_count:     22
    .sgpr_spill_count: 0
    .symbol:         bluestein_single_back_len1690_dim1_sp_op_CI_CI.kd
    .uniform_work_group_size: 1
    .uses_dynamic_stack: false
    .vgpr_count:     206
    .vgpr_spill_count: 0
    .wavefront_size: 64
amdhsa.target:   amdgcn-amd-amdhsa--gfx906
amdhsa.version:
  - 1
  - 2
...

	.end_amdgpu_metadata
